;; amdgpu-corpus repo=ROCm/rocFFT kind=compiled arch=gfx950 opt=O3
	.text
	.amdgcn_target "amdgcn-amd-amdhsa--gfx950"
	.amdhsa_code_object_version 6
	.protected	fft_rtc_back_len924_factors_2_2_3_7_11_wgs_44_tpt_44_halfLds_dp_op_CI_CI_sbrr_dirReg ; -- Begin function fft_rtc_back_len924_factors_2_2_3_7_11_wgs_44_tpt_44_halfLds_dp_op_CI_CI_sbrr_dirReg
	.globl	fft_rtc_back_len924_factors_2_2_3_7_11_wgs_44_tpt_44_halfLds_dp_op_CI_CI_sbrr_dirReg
	.p2align	8
	.type	fft_rtc_back_len924_factors_2_2_3_7_11_wgs_44_tpt_44_halfLds_dp_op_CI_CI_sbrr_dirReg,@function
fft_rtc_back_len924_factors_2_2_3_7_11_wgs_44_tpt_44_halfLds_dp_op_CI_CI_sbrr_dirReg: ; @fft_rtc_back_len924_factors_2_2_3_7_11_wgs_44_tpt_44_halfLds_dp_op_CI_CI_sbrr_dirReg
; %bb.0:
	s_load_dwordx4 s[12:15], s[0:1], 0x18
	s_load_dwordx4 s[4:7], s[0:1], 0x0
	;; [unrolled: 1-line block ×3, first 2 shown]
	v_mul_u32_u24_e32 v1, 0x5d2, v0
	v_add_u32_sdwa v6, s2, v1 dst_sel:DWORD dst_unused:UNUSED_PAD src0_sel:DWORD src1_sel:WORD_1
	s_waitcnt lgkmcnt(0)
	s_load_dwordx2 s[18:19], s[12:13], 0x0
	s_load_dwordx2 s[16:17], s[14:15], 0x0
	v_mov_b32_e32 v2, 0
	v_cmp_lt_u64_e64 s[2:3], s[6:7], 2
	v_mov_b32_e32 v7, v2
	s_and_b64 vcc, exec, s[2:3]
	v_mov_b64_e32 v[4:5], 0
	s_cbranch_vccnz .LBB0_8
; %bb.1:
	s_load_dwordx2 s[2:3], s[0:1], 0x10
	s_add_u32 s20, s14, 8
	s_addc_u32 s21, s15, 0
	s_add_u32 s22, s12, 8
	s_addc_u32 s23, s13, 0
	s_waitcnt lgkmcnt(0)
	s_add_u32 s24, s2, 8
	v_mov_b64_e32 v[4:5], 0
	s_addc_u32 s25, s3, 0
	s_mov_b64 s[26:27], 1
	v_mov_b64_e32 v[112:113], v[4:5]
.LBB0_2:                                ; =>This Inner Loop Header: Depth=1
	s_load_dwordx2 s[28:29], s[24:25], 0x0
                                        ; implicit-def: $vgpr114_vgpr115
	s_waitcnt lgkmcnt(0)
	v_or_b32_e32 v3, s29, v7
	v_cmp_ne_u64_e32 vcc, 0, v[2:3]
	s_and_saveexec_b64 s[2:3], vcc
	s_xor_b64 s[30:31], exec, s[2:3]
	s_cbranch_execz .LBB0_4
; %bb.3:                                ;   in Loop: Header=BB0_2 Depth=1
	v_cvt_f32_u32_e32 v1, s28
	v_cvt_f32_u32_e32 v3, s29
	s_sub_u32 s2, 0, s28
	s_subb_u32 s3, 0, s29
	v_fmac_f32_e32 v1, 0x4f800000, v3
	v_rcp_f32_e32 v1, v1
	s_nop 0
	v_mul_f32_e32 v1, 0x5f7ffffc, v1
	v_mul_f32_e32 v3, 0x2f800000, v1
	v_trunc_f32_e32 v3, v3
	v_fmac_f32_e32 v1, 0xcf800000, v3
	v_cvt_u32_f32_e32 v3, v3
	v_cvt_u32_f32_e32 v1, v1
	v_mul_lo_u32 v8, s2, v3
	v_mul_hi_u32 v10, s2, v1
	v_mul_lo_u32 v9, s3, v1
	v_add_u32_e32 v10, v10, v8
	v_mul_lo_u32 v12, s2, v1
	v_add_u32_e32 v13, v10, v9
	v_mul_hi_u32 v8, v1, v12
	v_mul_hi_u32 v11, v1, v13
	v_mul_lo_u32 v10, v1, v13
	v_mov_b32_e32 v9, v2
	v_lshl_add_u64 v[8:9], v[8:9], 0, v[10:11]
	v_mul_hi_u32 v11, v3, v12
	v_mul_lo_u32 v12, v3, v12
	v_add_co_u32_e32 v8, vcc, v8, v12
	v_mul_hi_u32 v10, v3, v13
	s_nop 0
	v_addc_co_u32_e32 v8, vcc, v9, v11, vcc
	v_mov_b32_e32 v9, v2
	s_nop 0
	v_addc_co_u32_e32 v11, vcc, 0, v10, vcc
	v_mul_lo_u32 v10, v3, v13
	v_lshl_add_u64 v[8:9], v[8:9], 0, v[10:11]
	v_add_co_u32_e32 v1, vcc, v1, v8
	v_mul_lo_u32 v10, s2, v1
	s_nop 0
	v_addc_co_u32_e32 v3, vcc, v3, v9, vcc
	v_mul_lo_u32 v8, s2, v3
	v_mul_hi_u32 v9, s2, v1
	v_add_u32_e32 v8, v9, v8
	v_mul_lo_u32 v9, s3, v1
	v_add_u32_e32 v12, v8, v9
	v_mul_hi_u32 v14, v3, v10
	v_mul_lo_u32 v15, v3, v10
	v_mul_hi_u32 v9, v1, v12
	v_mul_lo_u32 v8, v1, v12
	v_mul_hi_u32 v10, v1, v10
	v_mov_b32_e32 v11, v2
	v_lshl_add_u64 v[8:9], v[10:11], 0, v[8:9]
	v_add_co_u32_e32 v8, vcc, v8, v15
	v_mul_hi_u32 v13, v3, v12
	s_nop 0
	v_addc_co_u32_e32 v8, vcc, v9, v14, vcc
	v_mul_lo_u32 v10, v3, v12
	s_nop 0
	v_addc_co_u32_e32 v11, vcc, 0, v13, vcc
	v_mov_b32_e32 v9, v2
	v_lshl_add_u64 v[8:9], v[8:9], 0, v[10:11]
	v_add_co_u32_e32 v1, vcc, v1, v8
	v_mul_hi_u32 v10, v6, v1
	s_nop 0
	v_addc_co_u32_e32 v3, vcc, v3, v9, vcc
	v_mad_u64_u32 v[8:9], s[2:3], v6, v3, 0
	v_mov_b32_e32 v11, v2
	v_lshl_add_u64 v[8:9], v[10:11], 0, v[8:9]
	v_mad_u64_u32 v[12:13], s[2:3], v7, v1, 0
	v_add_co_u32_e32 v1, vcc, v8, v12
	v_mad_u64_u32 v[10:11], s[2:3], v7, v3, 0
	s_nop 0
	v_addc_co_u32_e32 v8, vcc, v9, v13, vcc
	v_mov_b32_e32 v9, v2
	s_nop 0
	v_addc_co_u32_e32 v11, vcc, 0, v11, vcc
	v_lshl_add_u64 v[8:9], v[8:9], 0, v[10:11]
	v_mul_lo_u32 v1, s29, v8
	v_mul_lo_u32 v3, s28, v9
	v_mad_u64_u32 v[10:11], s[2:3], s28, v8, 0
	v_add3_u32 v1, v11, v3, v1
	v_sub_u32_e32 v3, v7, v1
	v_mov_b32_e32 v11, s29
	v_sub_co_u32_e32 v14, vcc, v6, v10
	v_lshl_add_u64 v[12:13], v[8:9], 0, 1
	s_nop 0
	v_subb_co_u32_e64 v3, s[2:3], v3, v11, vcc
	v_subrev_co_u32_e64 v10, s[2:3], s28, v14
	v_subb_co_u32_e32 v1, vcc, v7, v1, vcc
	s_nop 0
	v_subbrev_co_u32_e64 v3, s[2:3], 0, v3, s[2:3]
	v_cmp_le_u32_e64 s[2:3], s29, v3
	v_cmp_le_u32_e32 vcc, s29, v1
	s_nop 0
	v_cndmask_b32_e64 v11, 0, -1, s[2:3]
	v_cmp_le_u32_e64 s[2:3], s28, v10
	s_nop 1
	v_cndmask_b32_e64 v10, 0, -1, s[2:3]
	v_cmp_eq_u32_e64 s[2:3], s29, v3
	s_nop 1
	v_cndmask_b32_e64 v3, v11, v10, s[2:3]
	v_lshl_add_u64 v[10:11], v[8:9], 0, 2
	v_cmp_ne_u32_e64 s[2:3], 0, v3
	s_nop 1
	v_cndmask_b32_e64 v3, v13, v11, s[2:3]
	v_cndmask_b32_e64 v11, 0, -1, vcc
	v_cmp_le_u32_e32 vcc, s28, v14
	s_nop 1
	v_cndmask_b32_e64 v13, 0, -1, vcc
	v_cmp_eq_u32_e32 vcc, s29, v1
	s_nop 1
	v_cndmask_b32_e32 v1, v11, v13, vcc
	v_cmp_ne_u32_e32 vcc, 0, v1
	v_cndmask_b32_e64 v1, v12, v10, s[2:3]
	s_nop 0
	v_cndmask_b32_e32 v115, v9, v3, vcc
	v_cndmask_b32_e32 v114, v8, v1, vcc
.LBB0_4:                                ;   in Loop: Header=BB0_2 Depth=1
	s_andn2_saveexec_b64 s[2:3], s[30:31]
	s_cbranch_execz .LBB0_6
; %bb.5:                                ;   in Loop: Header=BB0_2 Depth=1
	v_cvt_f32_u32_e32 v1, s28
	s_sub_i32 s30, 0, s28
	v_mov_b32_e32 v115, v2
	v_rcp_iflag_f32_e32 v1, v1
	s_nop 0
	v_mul_f32_e32 v1, 0x4f7ffffe, v1
	v_cvt_u32_f32_e32 v1, v1
	v_mul_lo_u32 v3, s30, v1
	v_mul_hi_u32 v3, v1, v3
	v_add_u32_e32 v1, v1, v3
	v_mul_hi_u32 v1, v6, v1
	v_mul_lo_u32 v3, v1, s28
	v_sub_u32_e32 v3, v6, v3
	v_add_u32_e32 v8, 1, v1
	v_subrev_u32_e32 v9, s28, v3
	v_cmp_le_u32_e32 vcc, s28, v3
	s_nop 1
	v_cndmask_b32_e32 v3, v3, v9, vcc
	v_cndmask_b32_e32 v1, v1, v8, vcc
	v_add_u32_e32 v8, 1, v1
	v_cmp_le_u32_e32 vcc, s28, v3
	s_nop 1
	v_cndmask_b32_e32 v114, v1, v8, vcc
.LBB0_6:                                ;   in Loop: Header=BB0_2 Depth=1
	s_or_b64 exec, exec, s[2:3]
	v_mad_u64_u32 v[8:9], s[2:3], v114, s28, 0
	s_load_dwordx2 s[2:3], s[22:23], 0x0
	v_mul_lo_u32 v1, v115, s28
	v_mul_lo_u32 v3, v114, s29
	s_load_dwordx2 s[28:29], s[20:21], 0x0
	s_add_u32 s26, s26, 1
	v_add3_u32 v1, v9, v3, v1
	v_sub_co_u32_e32 v3, vcc, v6, v8
	s_addc_u32 s27, s27, 0
	s_nop 0
	v_subb_co_u32_e32 v1, vcc, v7, v1, vcc
	s_add_u32 s20, s20, 8
	s_waitcnt lgkmcnt(0)
	v_mul_lo_u32 v6, s2, v1
	v_mul_lo_u32 v7, s3, v3
	v_mad_u64_u32 v[4:5], s[2:3], s2, v3, v[4:5]
	s_addc_u32 s21, s21, 0
	v_add3_u32 v5, v7, v5, v6
	v_mul_lo_u32 v1, s28, v1
	v_mul_lo_u32 v6, s29, v3
	v_mad_u64_u32 v[112:113], s[2:3], s28, v3, v[112:113]
	s_add_u32 s22, s22, 8
	v_add3_u32 v113, v6, v113, v1
	s_addc_u32 s23, s23, 0
	v_mov_b64_e32 v[6:7], s[6:7]
	s_add_u32 s24, s24, 8
	v_cmp_ge_u64_e32 vcc, s[26:27], v[6:7]
	s_addc_u32 s25, s25, 0
	s_cbranch_vccnz .LBB0_9
; %bb.7:                                ;   in Loop: Header=BB0_2 Depth=1
	v_mov_b64_e32 v[6:7], v[114:115]
	s_branch .LBB0_2
.LBB0_8:
	v_mov_b64_e32 v[112:113], v[4:5]
	v_mov_b64_e32 v[114:115], v[6:7]
.LBB0_9:
	s_load_dwordx2 s[0:1], s[0:1], 0x28
	s_lshl_b64 s[20:21], s[6:7], 3
	s_add_u32 s2, s14, s20
	s_addc_u32 s3, s15, s21
                                        ; implicit-def: $vgpr156
                                        ; implicit-def: $vgpr157
                                        ; implicit-def: $vgpr116
                                        ; implicit-def: $vgpr117
                                        ; implicit-def: $vgpr118
                                        ; implicit-def: $vgpr119
                                        ; implicit-def: $vgpr120
                                        ; implicit-def: $vgpr121
                                        ; implicit-def: $vgpr122
                                        ; implicit-def: $vgpr123
	s_waitcnt lgkmcnt(0)
	v_cmp_gt_u64_e32 vcc, s[0:1], v[114:115]
	v_cmp_le_u64_e64 s[0:1], s[0:1], v[114:115]
	s_and_saveexec_b64 s[6:7], s[0:1]
	s_xor_b64 s[0:1], exec, s[6:7]
	s_cbranch_execz .LBB0_11
; %bb.10:
	s_mov_b32 s6, 0x5d1745e
	v_mul_hi_u32 v1, v0, s6
	v_mul_u32_u24_e32 v1, 44, v1
	v_sub_u32_e32 v156, v0, v1
	v_add_u32_e32 v157, 44, v156
	v_add_u32_e32 v116, 0x58, v156
	;; [unrolled: 1-line block ×9, first 2 shown]
                                        ; implicit-def: $vgpr0
                                        ; implicit-def: $vgpr4_vgpr5
.LBB0_11:
	s_or_saveexec_b64 s[6:7], s[0:1]
	s_load_dwordx2 s[2:3], s[2:3], 0x0
                                        ; implicit-def: $vgpr74_vgpr75
                                        ; implicit-def: $vgpr66_vgpr67
                                        ; implicit-def: $vgpr22_vgpr23
                                        ; implicit-def: $vgpr14_vgpr15
                                        ; implicit-def: $vgpr34_vgpr35
                                        ; implicit-def: $vgpr2_vgpr3
                                        ; implicit-def: $vgpr10_vgpr11
                                        ; implicit-def: $vgpr6_vgpr7
                                        ; implicit-def: $vgpr26_vgpr27
                                        ; implicit-def: $vgpr18_vgpr19
                                        ; implicit-def: $vgpr42_vgpr43
                                        ; implicit-def: $vgpr30_vgpr31
                                        ; implicit-def: $vgpr54_vgpr55
                                        ; implicit-def: $vgpr50_vgpr51
                                        ; implicit-def: $vgpr62_vgpr63
                                        ; implicit-def: $vgpr58_vgpr59
                                        ; implicit-def: $vgpr78_vgpr79
                                        ; implicit-def: $vgpr70_vgpr71
                                        ; implicit-def: $vgpr86_vgpr87
                                        ; implicit-def: $vgpr82_vgpr83
                                        ; implicit-def: $vgpr46_vgpr47
                                        ; implicit-def: $vgpr38_vgpr39
	s_xor_b64 exec, exec, s[6:7]
	s_cbranch_execz .LBB0_15
; %bb.12:
	s_add_u32 s0, s12, s20
	s_addc_u32 s1, s13, s21
	s_load_dwordx2 s[0:1], s[0:1], 0x0
	s_mov_b32 s12, 0x5d1745e
	s_waitcnt lgkmcnt(0)
	v_mul_lo_u32 v1, s1, v114
	v_mul_lo_u32 v6, s0, v115
	v_mad_u64_u32 v[2:3], s[0:1], s0, v114, 0
	v_add3_u32 v3, v3, v6, v1
	v_mul_hi_u32 v1, v0, s12
	v_mul_u32_u24_e32 v1, 44, v1
	v_sub_u32_e32 v156, v0, v1
	v_lshl_add_u64 v[2:3], v[2:3], 4, s[8:9]
	v_lshl_add_u64 v[66:67], v[4:5], 4, v[2:3]
	v_add_u32_e32 v5, 0x1ce, v156
	v_mad_u64_u32 v[2:3], s[0:1], s18, v5, 0
	v_mad_u64_u32 v[0:1], s[0:1], s18, v156, 0
	v_mov_b32_e32 v4, v3
	v_mov_b32_e32 v6, v1
	v_mad_u64_u32 v[4:5], s[0:1], s19, v5, v[4:5]
	v_add_u32_e32 v157, 44, v156
	v_mad_u64_u32 v[6:7], s[0:1], s19, v156, v[6:7]
	v_mov_b32_e32 v3, v4
	v_mad_u64_u32 v[4:5], s[0:1], s18, v157, 0
	v_mov_b32_e32 v1, v6
	v_mov_b32_e32 v6, v5
	v_mad_u64_u32 v[6:7], s[0:1], s19, v157, v[6:7]
	v_add_u32_e32 v9, 0x1fa, v156
	v_mov_b32_e32 v5, v6
	v_mad_u64_u32 v[6:7], s[0:1], s18, v9, 0
	v_mov_b32_e32 v8, v7
	v_mad_u64_u32 v[8:9], s[0:1], s19, v9, v[8:9]
	v_add_u32_e32 v116, 0x58, v156
	v_mov_b32_e32 v7, v8
	v_mad_u64_u32 v[8:9], s[0:1], s18, v116, 0
	;; [unrolled: 5-line block ×15, first 2 shown]
	v_mov_b32_e32 v36, v35
	v_add_u32_e32 v123, 0x18c, v156
	v_mad_u64_u32 v[36:37], s[0:1], s19, v37, v[36:37]
	v_mad_u64_u32 v[40:41], s[0:1], s18, v123, 0
	v_mov_b32_e32 v35, v36
	v_mov_b32_e32 v36, v41
	v_mad_u64_u32 v[36:37], s[0:1], s19, v123, v[36:37]
	v_add_u32_e32 v37, 0x35a, v156
	v_mad_u64_u32 v[42:43], s[0:1], s18, v37, 0
	v_mov_b32_e32 v41, v36
	v_mov_b32_e32 v36, v43
	v_mad_u64_u32 v[48:49], s[0:1], s19, v37, v[36:37]
	v_lshl_add_u64 v[0:1], v[0:1], 4, v[66:67]
	v_lshl_add_u64 v[2:3], v[2:3], 4, v[66:67]
	;; [unrolled: 1-line block ×8, first 2 shown]
	v_mov_b32_e32 v43, v48
	global_load_dwordx4 v[36:39], v[0:1], off
	global_load_dwordx4 v[44:47], v[2:3], off
	v_lshl_add_u64 v[72:73], v[6:7], 4, v[66:67]
	v_lshl_add_u64 v[74:75], v[8:9], 4, v[66:67]
	;; [unrolled: 1-line block ×12, first 2 shown]
	global_load_dwordx4 v[80:83], v[64:65], off
	global_load_dwordx4 v[84:87], v[72:73], off
	;; [unrolled: 1-line block ×15, first 2 shown]
                                        ; kill: killed $vgpr100_vgpr101
                                        ; kill: killed $vgpr96_vgpr97
                                        ; kill: killed $vgpr22_vgpr23
                                        ; kill: killed $vgpr92_vgpr93
                                        ; kill: killed $vgpr14_vgpr15
                                        ; kill: killed $vgpr88_vgpr89
                                        ; kill: killed $vgpr72_vgpr73
                                        ; kill: killed $vgpr32_vgpr33
                                        ; kill: killed $vgpr98_vgpr99
                                        ; kill: killed $vgpr94_vgpr95
                                        ; kill: killed $vgpr20_vgpr21
                                        ; kill: killed $vgpr90_vgpr91
                                        ; kill: killed $vgpr12_vgpr13
                                        ; kill: killed $vgpr74_vgpr75
                                        ; kill: killed $vgpr64_vgpr65
	s_nop 0
	global_load_dwordx4 v[32:35], v[102:103], off
	global_load_dwordx4 v[12:15], v[104:105], off
	;; [unrolled: 1-line block ×3, first 2 shown]
	v_cmp_gt_u32_e64 s[0:1], 22, v156
                                        ; implicit-def: $vgpr64_vgpr65
                                        ; implicit-def: $vgpr72_vgpr73
	s_and_saveexec_b64 s[8:9], s[0:1]
	s_cbranch_execz .LBB0_14
; %bb.13:
	v_add_u32_e32 v73, 0x1b8, v156
	v_mad_u64_u32 v[64:65], s[0:1], s18, v73, 0
	v_mov_b32_e32 v72, v65
	v_mad_u64_u32 v[72:73], s[0:1], s19, v73, v[72:73]
	v_mov_b32_e32 v65, v72
	v_add_u32_e32 v73, 0x386, v156
	v_lshl_add_u64 v[88:89], v[64:65], 4, v[66:67]
	v_mad_u64_u32 v[64:65], s[0:1], s18, v73, 0
	v_mov_b32_e32 v72, v65
	v_mad_u64_u32 v[72:73], s[0:1], s19, v73, v[72:73]
	v_mov_b32_e32 v65, v72
	v_lshl_add_u64 v[90:91], v[64:65], 4, v[66:67]
	global_load_dwordx4 v[64:67], v[88:89], off
	global_load_dwordx4 v[72:75], v[90:91], off
.LBB0_14:
	s_or_b64 exec, exec, s[8:9]
.LBB0_15:
	s_or_b64 exec, exec, s[6:7]
	s_waitcnt vmcnt(18)
	v_add_f64 v[90:91], v[36:37], -v[44:45]
	s_waitcnt vmcnt(14)
	v_add_f64 v[98:99], v[68:69], -v[76:77]
	v_fma_f64 v[88:89], v[36:37], 2.0, -v[90:91]
	v_fma_f64 v[96:97], v[68:69], 2.0, -v[98:99]
	v_lshl_add_u32 v68, v156, 4, 0
	v_add_f64 v[94:95], v[80:81], -v[84:85]
	s_waitcnt vmcnt(12)
	v_add_f64 v[102:103], v[56:57], -v[60:61]
	ds_write_b128 v68, v[88:91]
	s_waitcnt vmcnt(6)
	v_add_f64 v[90:91], v[16:17], -v[24:25]
	v_fma_f64 v[92:93], v[80:81], 2.0, -v[94:95]
	v_fma_f64 v[100:101], v[56:57], 2.0, -v[102:103]
	v_add_f64 v[106:107], v[48:49], -v[52:53]
	v_add_f64 v[110:111], v[28:29], -v[40:41]
	v_fma_f64 v[88:89], v[16:17], 2.0, -v[90:91]
	v_lshl_add_u32 v69, v157, 4, 0
	v_lshl_add_u32 v16, v116, 4, 0
	;; [unrolled: 1-line block ×3, first 2 shown]
	v_fma_f64 v[104:105], v[48:49], 2.0, -v[106:107]
	v_fma_f64 v[108:109], v[28:29], 2.0, -v[110:111]
	ds_write_b128 v69, v[92:95]
	ds_write_b128 v16, v[96:99]
	;; [unrolled: 1-line block ×3, first 2 shown]
	v_lshl_add_u32 v24, v118, 4, 0
	s_waitcnt vmcnt(0)
	v_add_f64 v[102:103], v[12:13], -v[20:21]
	v_lshl_add_u32 v20, v119, 4, 0
	v_lshl_add_u32 v21, v120, 4, 0
	v_add_f64 v[94:95], v[4:5], -v[8:9]
	v_add_f64 v[98:99], v[0:1], -v[32:33]
	ds_write_b128 v24, v[104:107]
	ds_write_b128 v20, v[108:111]
	;; [unrolled: 1-line block ×3, first 2 shown]
	v_add_f64 v[90:91], v[64:65], -v[72:73]
	v_add_u32_e32 v72, 0x1b8, v156
	v_fma_f64 v[92:93], v[4:5], 2.0, -v[94:95]
	v_fma_f64 v[96:97], v[0:1], 2.0, -v[98:99]
	v_fma_f64 v[100:101], v[12:13], 2.0, -v[102:103]
	v_fma_f64 v[88:89], v[64:65], 2.0, -v[90:91]
	v_lshl_add_u32 v25, v121, 4, 0
	v_lshl_add_u32 v28, v122, 4, 0
	;; [unrolled: 1-line block ×3, first 2 shown]
	v_cmp_gt_u32_e64 s[0:1], 22, v156
	v_lshl_add_u32 v8, v72, 4, 0
	ds_write_b128 v25, v[92:95]
	ds_write_b128 v28, v[96:99]
	;; [unrolled: 1-line block ×3, first 2 shown]
	s_and_saveexec_b64 s[6:7], s[0:1]
	s_cbranch_execz .LBB0_17
; %bb.16:
	ds_write_b128 v8, v[88:91]
.LBB0_17:
	s_or_b64 exec, exec, s[6:7]
	v_lshl_add_u32 v132, v156, 3, 0
	v_lshlrev_b32_e32 v4, 3, v116
	v_add_u32_e32 v0, 0x800, v132
	v_sub_u32_e32 v9, v16, v4
	v_add_u32_e32 v12, 0x1000, v132
	v_lshlrev_b32_e32 v5, 3, v117
	s_waitcnt lgkmcnt(0)
	; wave barrier
	s_waitcnt lgkmcnt(0)
	ds_read2_b64 v[92:95], v0 offset0:206 offset1:250
	v_lshl_add_u32 v133, v157, 3, 0
	ds_read2_b64 v[96:99], v12 offset0:38 offset1:82
	v_sub_u32_e32 v13, v17, v5
	ds_read_b64 v[0:1], v132
	ds_read_b64 v[32:33], v133
	;; [unrolled: 1-line block ×4, first 2 shown]
	v_lshlrev_b32_e32 v9, 3, v118
	v_lshlrev_b32_e32 v76, 3, v120
	;; [unrolled: 1-line block ×3, first 2 shown]
	v_sub_u32_e32 v44, v24, v9
	v_lshlrev_b32_e32 v13, 3, v119
	v_sub_u32_e32 v52, v21, v76
	v_add_u32_e32 v45, 0x1400, v132
	v_sub_u32_e32 v56, v25, v77
	ds_read2_b64 v[100:103], v12 offset0:126 offset1:170
	v_sub_u32_e32 v12, v20, v13
	ds_read2_b64 v[104:107], v45 offset0:86 offset1:130
	ds_read_b64 v[44:45], v44
	ds_read_b64 v[48:49], v12
	;; [unrolled: 1-line block ×4, first 2 shown]
	v_lshlrev_b32_e32 v124, 3, v122
	v_lshlrev_b32_e32 v125, 3, v123
	v_sub_u32_e32 v12, v28, v124
	v_add_u32_e32 v60, 0x1800, v132
	v_sub_u32_e32 v64, v29, v125
	ds_read2_b64 v[108:111], v60 offset0:46 offset1:90
	ds_read_b64 v[60:61], v12
	ds_read_b64 v[64:65], v64
	s_and_saveexec_b64 s[6:7], s[0:1]
	s_cbranch_execz .LBB0_19
; %bb.18:
	ds_read_b64 v[88:89], v132 offset:3520
	ds_read_b64 v[90:91], v132 offset:7216
.LBB0_19:
	s_or_b64 exec, exec, s[6:7]
	v_add_f64 v[160:161], v[6:7], -v[10:11]
	v_add_f64 v[126:127], v[38:39], -v[46:47]
	v_fma_f64 v[158:159], v[6:7], 2.0, -v[160:161]
	v_add_f64 v[6:7], v[66:67], -v[74:75]
	v_sub_u32_e32 v12, 0, v4
	v_sub_u32_e32 v85, 0, v5
	v_sub_u32_e32 v73, 0, v9
	v_sub_u32_e32 v84, 0, v13
	v_sub_u32_e32 v81, 0, v76
	v_sub_u32_e32 v80, 0, v77
	v_sub_u32_e32 v77, 0, v124
	v_sub_u32_e32 v76, 0, v125
	v_fma_f64 v[124:125], v[38:39], 2.0, -v[126:127]
	v_add_f64 v[130:131], v[82:83], -v[86:87]
	v_add_f64 v[136:137], v[70:71], -v[78:79]
	;; [unrolled: 1-line block ×8, first 2 shown]
	v_fma_f64 v[4:5], v[66:67], 2.0, -v[6:7]
	v_fma_f64 v[128:129], v[82:83], 2.0, -v[130:131]
	;; [unrolled: 1-line block ×9, first 2 shown]
	s_waitcnt lgkmcnt(0)
	; wave barrier
	s_waitcnt lgkmcnt(0)
	ds_write_b128 v68, v[124:127]
	ds_write_b128 v69, v[128:131]
	;; [unrolled: 1-line block ×10, first 2 shown]
	s_and_saveexec_b64 s[6:7], s[0:1]
	s_cbranch_execz .LBB0_21
; %bb.20:
	ds_write_b128 v8, v[4:7]
.LBB0_21:
	s_or_b64 exec, exec, s[6:7]
	v_add_u32_e32 v8, 0x800, v132
	v_add_u32_e32 v78, v16, v12
	;; [unrolled: 1-line block ×6, first 2 shown]
	s_waitcnt lgkmcnt(0)
	; wave barrier
	s_waitcnt lgkmcnt(0)
	ds_read2_b64 v[8:11], v8 offset0:206 offset1:250
	ds_read2_b64 v[12:15], v16 offset0:38 offset1:82
	v_add_u32_e32 v79, v17, v85
	ds_read_b64 v[46:47], v132
	ds_read_b64 v[42:43], v133
	;; [unrolled: 1-line block ×4, first 2 shown]
	ds_read2_b64 v[16:19], v16 offset0:126 offset1:170
	v_add_u32_e32 v70, v21, v81
	ds_read2_b64 v[20:23], v20 offset0:86 offset1:130
	v_add_u32_e32 v75, v25, v80
	ds_read_b64 v[62:63], v73
	ds_read_b64 v[58:59], v74
	ds_read_b64 v[54:55], v70
	ds_read_b64 v[50:51], v75
	v_add_u32_e32 v28, v28, v77
	v_add_u32_e32 v24, 0x1800, v132
	ds_read2_b64 v[24:27], v24 offset0:46 offset1:90
	v_add_u32_e32 v71, v29, v76
	ds_read_b64 v[68:69], v28
	ds_read_b64 v[66:67], v71
	v_lshlrev_b32_e32 v2, 1, v156
	v_lshlrev_b32_e32 v3, 1, v157
	;; [unrolled: 1-line block ×10, first 2 shown]
	s_and_saveexec_b64 s[6:7], s[0:1]
	s_cbranch_execz .LBB0_23
; %bb.22:
	ds_read_b64 v[4:5], v132 offset:3520
	ds_read_b64 v[6:7], v132 offset:7216
.LBB0_23:
	s_or_b64 exec, exec, s[6:7]
	v_and_b32_e32 v76, 1, v156
	v_lshlrev_b32_e32 v28, 4, v76
	global_load_dwordx4 v[28:31], v28, s[4:5]
	s_movk_i32 s6, 0x7c
	s_movk_i32 s7, 0xfc
	s_movk_i32 s9, 0x1fc
	s_movk_i32 s8, 0x3fc
	s_movk_i32 s12, 0x2fc
	v_and_or_b32 v2, v2, s6, v76
	v_and_or_b32 v3, v3, s7, v76
	;; [unrolled: 1-line block ×8, first 2 shown]
	v_lshl_add_u32 v77, v2, 3, 0
	v_lshl_add_u32 v80, v3, 3, 0
	v_and_or_b32 v86, v87, s8, v76
	v_and_or_b32 v121, v81, s12, v76
	v_lshl_add_u32 v81, v82, 3, 0
	v_lshl_add_u32 v82, v83, 3, 0
	;; [unrolled: 1-line block ×4, first 2 shown]
	s_waitcnt lgkmcnt(0)
	; wave barrier
	s_waitcnt lgkmcnt(0)
	v_lshl_add_u32 v86, v86, 3, 0
	v_lshl_add_u32 v121, v121, 3, 0
	v_lshl_add_u32 v122, v122, 3, 0
	v_lshl_add_u32 v123, v123, 3, 0
	s_waitcnt vmcnt(0)
	v_mul_f64 v[2:3], v[8:9], v[30:31]
	v_mul_f64 v[128:129], v[16:17], v[30:31]
	;; [unrolled: 1-line block ×10, first 2 shown]
	v_fmac_f64_e32 v[2:3], v[92:93], v[28:29]
	v_fmac_f64_e32 v[128:129], v[100:101], v[28:29]
	v_mul_f64 v[142:143], v[6:7], v[30:31]
	v_fmac_f64_e32 v[84:85], v[94:95], v[28:29]
	v_fmac_f64_e32 v[124:125], v[96:97], v[28:29]
	;; [unrolled: 1-line block ×8, first 2 shown]
	v_add_f64 v[144:145], v[0:1], -v[2:3]
	v_add_f64 v[128:129], v[44:45], -v[128:129]
	v_fmac_f64_e32 v[142:143], v[90:91], v[28:29]
	v_add_f64 v[84:85], v[32:33], -v[84:85]
	v_add_f64 v[124:125], v[36:37], -v[124:125]
	;; [unrolled: 1-line block ×8, first 2 shown]
	v_fma_f64 v[0:1], v[0:1], 2.0, -v[144:145]
	v_fma_f64 v[44:45], v[44:45], 2.0, -v[128:129]
	v_add_f64 v[2:3], v[88:89], -v[142:143]
	v_fma_f64 v[32:33], v[32:33], 2.0, -v[84:85]
	v_fma_f64 v[36:37], v[36:37], 2.0, -v[124:125]
	;; [unrolled: 1-line block ×8, first 2 shown]
	ds_write2_b64 v77, v[0:1], v[144:145] offset1:2
	ds_write2_b64 v80, v[32:33], v[84:85] offset1:2
	;; [unrolled: 1-line block ×10, first 2 shown]
	v_lshlrev_b32_e32 v44, 1, v72
	s_and_saveexec_b64 s[6:7], s[0:1]
	s_cbranch_execz .LBB0_25
; %bb.24:
	v_and_or_b32 v0, v44, s8, v76
	v_lshl_add_u32 v32, v0, 3, 0
	v_fma_f64 v[0:1], v[88:89], 2.0, -v[2:3]
	ds_write2_b64 v32, v[0:1], v[2:3] offset1:2
.LBB0_25:
	s_or_b64 exec, exec, s[6:7]
	v_mul_f64 v[0:1], v[92:93], v[30:31]
	v_fma_f64 v[0:1], v[8:9], v[28:29], -v[0:1]
	v_mul_f64 v[8:9], v[94:95], v[30:31]
	v_fma_f64 v[8:9], v[10:11], v[28:29], -v[8:9]
	;; [unrolled: 2-line block ×9, first 2 shown]
	v_mul_f64 v[24:25], v[110:111], v[30:31]
	v_add_f64 v[104:105], v[68:69], -v[22:23]
	v_fma_f64 v[24:25], v[26:27], v[28:29], -v[24:25]
	v_mul_f64 v[26:27], v[90:91], v[30:31]
	v_add_f64 v[52:53], v[42:43], -v[8:9]
	v_add_f64 v[64:65], v[38:39], -v[10:11]
	;; [unrolled: 1-line block ×4, first 2 shown]
	v_fma_f64 v[106:107], v[68:69], 2.0, -v[104:105]
	v_add_u32_e32 v84, 0x1000, v132
	v_add_u32_e32 v85, 0x800, v132
	;; [unrolled: 1-line block ×3, first 2 shown]
	v_fma_f64 v[6:7], v[6:7], v[28:29], -v[26:27]
	v_add_f64 v[48:49], v[46:47], -v[0:1]
	v_fma_f64 v[56:57], v[42:43], 2.0, -v[52:53]
	v_fma_f64 v[88:89], v[38:39], 2.0, -v[64:65]
	;; [unrolled: 1-line block ×3, first 2 shown]
	v_add_f64 v[94:95], v[62:63], -v[14:15]
	v_fma_f64 v[98:99], v[58:59], 2.0, -v[96:97]
	v_add_f64 v[100:101], v[54:55], -v[18:19]
	v_add_f64 v[102:103], v[50:51], -v[20:21]
	;; [unrolled: 1-line block ×3, first 2 shown]
	s_waitcnt lgkmcnt(0)
	; wave barrier
	s_waitcnt lgkmcnt(0)
	ds_read_b64 v[40:41], v132
	ds_read_b64 v[60:61], v75
	ds_read2_b64 v[24:27], v84 offset0:104 offset1:148
	ds_read2_b64 v[28:31], v85 offset0:96 offset1:140
	ds_read_b64 v[36:37], v78
	ds_read2_b64 v[20:23], v84 offset0:192 offset1:236
	ds_read2_b64 v[16:19], v85 offset0:184 offset1:228
	;; [unrolled: 1-line block ×4, first 2 shown]
	ds_read_b64 v[38:39], v79
	ds_read_b64 v[34:35], v73
	;; [unrolled: 1-line block ×5, first 2 shown]
	ds_read_b64 v[58:59], v132 offset:7040
	v_fma_f64 v[46:47], v[46:47], 2.0, -v[48:49]
	v_add_f64 v[6:7], v[4:5], -v[6:7]
	v_fma_f64 v[62:63], v[62:63], 2.0, -v[94:95]
	v_fma_f64 v[54:55], v[54:55], 2.0, -v[100:101]
	;; [unrolled: 1-line block ×4, first 2 shown]
	s_waitcnt lgkmcnt(0)
	; wave barrier
	s_waitcnt lgkmcnt(0)
	ds_write2_b64 v77, v[46:47], v[48:49] offset1:2
	ds_write2_b64 v80, v[56:57], v[52:53] offset1:2
	;; [unrolled: 1-line block ×10, first 2 shown]
	s_and_saveexec_b64 s[6:7], s[0:1]
	s_cbranch_execz .LBB0_27
; %bb.26:
	s_movk_i32 s0, 0x3fc
	v_and_or_b32 v44, v44, s0, v76
	v_fma_f64 v[4:5], v[4:5], 2.0, -v[6:7]
	v_lshl_add_u32 v44, v44, 3, 0
	ds_write2_b64 v44, v[4:5], v[6:7] offset1:2
.LBB0_27:
	s_or_b64 exec, exec, s[6:7]
	v_and_b32_e32 v69, 3, v156
	v_lshlrev_b32_e32 v4, 5, v69
	s_waitcnt lgkmcnt(0)
	; wave barrier
	s_waitcnt lgkmcnt(0)
	global_load_dwordx4 v[62:65], v4, s[4:5] offset:32
	global_load_dwordx4 v[80:83], v4, s[4:5] offset:48
	ds_read_b64 v[44:45], v132
	ds_read_b64 v[4:5], v75
	ds_read2_b64 v[86:89], v84 offset0:104 offset1:148
	ds_read2_b64 v[90:93], v85 offset0:96 offset1:140
	ds_read_b64 v[46:47], v78
	ds_read2_b64 v[94:97], v84 offset0:192 offset1:236
	ds_read2_b64 v[98:101], v85 offset0:184 offset1:228
	;; [unrolled: 1-line block ×4, first 2 shown]
	ds_read_b64 v[54:55], v79
	ds_read_b64 v[52:53], v73
	;; [unrolled: 1-line block ×5, first 2 shown]
	ds_read_b64 v[66:67], v132 offset:7040
	s_mov_b32 s0, 0xe8584caa
	s_mov_b32 s1, 0xbfebb67a
	;; [unrolled: 1-line block ×4, first 2 shown]
	s_waitcnt lgkmcnt(0)
	; wave barrier
	s_waitcnt lgkmcnt(0)
	s_mov_b32 s8, 0x37e14327
	s_mov_b32 s14, 0xe976ee23
	;; [unrolled: 1-line block ×18, first 2 shown]
	s_waitcnt vmcnt(1)
	v_mul_f64 v[72:73], v[4:5], v[64:65]
	s_waitcnt vmcnt(0)
	v_mul_f64 v[76:77], v[86:87], v[82:83]
	v_mul_f64 v[74:75], v[60:61], v[64:65]
	;; [unrolled: 1-line block ×15, first 2 shown]
	v_fmac_f64_e32 v[72:73], v[60:61], v[62:63]
	v_fmac_f64_e32 v[76:77], v[24:25], v[80:81]
	v_fma_f64 v[4:5], v[4:5], v[62:63], -v[74:75]
	v_fma_f64 v[24:25], v[86:87], v[80:81], -v[110:111]
	v_fmac_f64_e32 v[122:123], v[28:29], v[62:63]
	v_fma_f64 v[28:29], v[90:91], v[62:63], -v[124:125]
	v_fmac_f64_e32 v[130:131], v[30:31], v[62:63]
	;; [unrolled: 2-line block ×6, first 2 shown]
	v_fma_f64 v[10:11], v[108:109], v[62:63], -v[64:65]
	v_add_f64 v[62:63], v[72:73], v[76:77]
	v_mul_f64 v[126:127], v[88:89], v[82:83]
	v_add_f64 v[60:61], v[40:41], v[72:73]
	v_add_f64 v[64:65], v[4:5], -v[24:25]
	v_fmac_f64_e32 v[40:41], -0.5, v[62:63]
	v_mul_f64 v[128:129], v[26:27], v[82:83]
	v_fmac_f64_e32 v[126:127], v[26:27], v[80:81]
	v_fma_f64 v[62:63], s[0:1], v[64:65], v[40:41]
	v_fmac_f64_e32 v[40:41], s[6:7], v[64:65]
	v_add_f64 v[64:65], v[44:45], v[4:5]
	v_add_f64 v[4:5], v[4:5], v[24:25]
	v_mul_f64 v[136:137], v[94:95], v[82:83]
	v_mul_f64 v[138:139], v[20:21], v[82:83]
	;; [unrolled: 1-line block ×10, first 2 shown]
	v_fma_f64 v[26:27], v[88:89], v[80:81], -v[128:129]
	v_add_f64 v[64:65], v[64:65], v[24:25]
	v_fmac_f64_e32 v[44:45], -0.5, v[4:5]
	v_add_f64 v[4:5], v[72:73], -v[76:77]
	v_add_f64 v[24:25], v[122:123], v[126:127]
	v_fmac_f64_e32 v[168:169], v[58:59], v[80:81]
	v_fma_f64 v[58:59], v[66:67], v[80:81], -v[82:83]
	v_fma_f64 v[66:67], s[6:7], v[4:5], v[44:45]
	v_fmac_f64_e32 v[44:45], s[0:1], v[4:5]
	v_add_f64 v[4:5], v[42:43], v[122:123]
	v_fmac_f64_e32 v[42:43], -0.5, v[24:25]
	v_add_f64 v[24:25], v[28:29], -v[26:27]
	v_fma_f64 v[72:73], s[0:1], v[24:25], v[42:43]
	v_fmac_f64_e32 v[42:43], s[6:7], v[24:25]
	v_add_f64 v[24:25], v[56:57], v[28:29]
	v_fmac_f64_e32 v[136:137], v[20:21], v[80:81]
	v_fma_f64 v[20:21], v[94:95], v[80:81], -v[138:139]
	v_fmac_f64_e32 v[144:145], v[22:23], v[80:81]
	v_fma_f64 v[22:23], v[96:97], v[80:81], -v[146:147]
	;; [unrolled: 2-line block ×4, first 2 shown]
	v_add_f64 v[80:81], v[24:25], v[26:27]
	v_add_f64 v[24:25], v[28:29], v[26:27]
	v_fmac_f64_e32 v[56:57], -0.5, v[24:25]
	v_add_f64 v[24:25], v[122:123], -v[126:127]
	v_add_f64 v[26:27], v[130:131], v[136:137]
	v_fma_f64 v[82:83], s[6:7], v[24:25], v[56:57]
	v_fmac_f64_e32 v[56:57], s[0:1], v[24:25]
	v_add_f64 v[24:25], v[36:37], v[130:131]
	v_fmac_f64_e32 v[36:37], -0.5, v[26:27]
	v_add_f64 v[26:27], v[30:31], -v[20:21]
	v_fma_f64 v[28:29], s[0:1], v[26:27], v[36:37]
	v_fmac_f64_e32 v[36:37], s[6:7], v[26:27]
	v_add_f64 v[26:27], v[46:47], v[30:31]
	v_add_f64 v[86:87], v[26:27], v[20:21]
	v_add_f64 v[20:21], v[30:31], v[20:21]
	v_fmac_f64_e32 v[46:47], -0.5, v[20:21]
	v_add_f64 v[20:21], v[130:131], -v[136:137]
	v_add_f64 v[26:27], v[140:141], v[144:145]
	v_fma_f64 v[88:89], s[6:7], v[20:21], v[46:47]
	v_fmac_f64_e32 v[46:47], s[0:1], v[20:21]
	v_add_f64 v[20:21], v[38:39], v[140:141]
	v_fmac_f64_e32 v[38:39], -0.5, v[26:27]
	v_add_f64 v[26:27], v[16:17], -v[22:23]
	v_fma_f64 v[30:31], s[0:1], v[26:27], v[38:39]
	v_fmac_f64_e32 v[38:39], s[6:7], v[26:27]
	v_add_f64 v[26:27], v[54:55], v[16:17]
	;; [unrolled: 13-line block ×5, first 2 shown]
	v_add_f64 v[10:11], v[10:11], v[58:59]
	v_fmac_f64_e32 v[48:49], -0.5, v[10:11]
	v_add_f64 v[10:11], v[166:167], -v[168:169]
	v_add_f64 v[102:103], v[14:15], v[58:59]
	v_fma_f64 v[58:59], s[6:7], v[10:11], v[48:49]
	v_fmac_f64_e32 v[48:49], s[0:1], v[10:11]
	v_lshrrev_b32_e32 v10, 2, v156
	v_mul_u32_u24_e32 v10, 12, v10
	v_or_b32_e32 v10, v10, v69
	v_lshl_add_u32 v104, v10, 3, 0
	v_lshrrev_b32_e32 v10, 2, v157
	v_mul_lo_u32 v10, v10, 12
	v_add_f64 v[60:61], v[60:61], v[76:77]
	v_or_b32_e32 v10, v10, v69
	v_add_f64 v[4:5], v[4:5], v[126:127]
	ds_write2_b64 v104, v[60:61], v[62:63] offset1:4
	ds_write_b64 v104, v[40:41] offset:64
	v_lshl_add_u32 v60, v10, 3, 0
	ds_write2_b64 v60, v[4:5], v[72:73] offset1:4
	ds_write_b64 v60, v[42:43] offset:64
	v_lshrrev_b32_e32 v4, 2, v116
	v_mul_lo_u32 v4, v4, 12
	v_or_b32_e32 v4, v4, v69
	v_lshl_add_u32 v61, v4, 3, 0
	v_lshrrev_b32_e32 v4, 2, v117
	v_mul_lo_u32 v4, v4, 12
	v_or_b32_e32 v4, v4, v69
	v_lshl_add_u32 v62, v4, 3, 0
	;; [unrolled: 4-line block ×3, first 2 shown]
	v_lshrrev_b32_e32 v4, 2, v119
	v_mul_lo_u32 v4, v4, 12
	v_add_f64 v[24:25], v[24:25], v[136:137]
	v_add_f64 v[20:21], v[20:21], v[144:145]
	;; [unrolled: 1-line block ×3, first 2 shown]
	v_or_b32_e32 v4, v4, v69
	ds_write2_b64 v61, v[24:25], v[28:29] offset1:4
	ds_write_b64 v61, v[36:37] offset:64
	ds_write2_b64 v62, v[20:21], v[30:31] offset1:4
	ds_write_b64 v62, v[38:39] offset:64
	;; [unrolled: 2-line block ×3, first 2 shown]
	v_lshl_add_u32 v34, v4, 3, 0
	v_lshrrev_b32_e32 v4, 2, v120
	v_mul_lo_u32 v4, v4, 12
	v_add_f64 v[12:13], v[12:13], v[162:163]
	v_or_b32_e32 v4, v4, v69
	v_add_f64 v[8:9], v[8:9], v[168:169]
	ds_write2_b64 v34, v[12:13], v[22:23] offset1:4
	ds_write_b64 v34, v[32:33] offset:64
	v_lshl_add_u32 v32, v4, 3, 0
	v_add_u32_e32 v134, 0xc00, v132
	v_add_u32_e32 v69, 0x1400, v132
	;; [unrolled: 1-line block ×3, first 2 shown]
	s_movk_i32 s0, 0xab
	ds_write2_b64 v32, v[8:9], v[18:19] offset1:4
	ds_write_b64 v32, v[0:1] offset:64
	s_waitcnt lgkmcnt(0)
	; wave barrier
	s_waitcnt lgkmcnt(0)
	ds_read2_b64 v[8:11], v132 offset1:176
	ds_read_b64 v[74:75], v70
	ds_read_b64 v[72:73], v71
	ds_read2_b64 v[20:23], v134 offset0:100 offset1:144
	ds_read2_b64 v[40:43], v84 offset0:148 offset1:192
	;; [unrolled: 1-line block ×3, first 2 shown]
	ds_read_b64 v[4:5], v133
	ds_read2_b64 v[36:39], v105 offset0:92 offset1:180
	ds_read2_b64 v[28:31], v85 offset0:96 offset1:184
	;; [unrolled: 1-line block ×4, first 2 shown]
	ds_read_b64 v[76:77], v79
	ds_read_b64 v[0:1], v78
	s_waitcnt lgkmcnt(0)
	; wave barrier
	s_waitcnt lgkmcnt(0)
	ds_write2_b64 v104, v[64:65], v[66:67] offset1:4
	ds_write_b64 v104, v[44:45] offset:64
	ds_write2_b64 v60, v[80:81], v[82:83] offset1:4
	ds_write_b64 v60, v[56:57] offset:64
	;; [unrolled: 2-line block ×7, first 2 shown]
	v_mul_lo_u16_sdwa v32, v156, s0 dst_sel:DWORD dst_unused:UNUSED_PAD src0_sel:BYTE_0 src1_sel:DWORD
	v_lshrrev_b16_e32 v135, 11, v32
	v_mul_lo_u16_e32 v32, 12, v135
	v_sub_u16_e32 v136, v156, v32
	v_mov_b32_e32 v32, 6
	v_mul_u32_u24_sdwa v33, v136, v32 dst_sel:DWORD dst_unused:UNUSED_PAD src0_sel:BYTE_0 src1_sel:DWORD
	v_lshlrev_b32_e32 v33, 4, v33
	s_waitcnt lgkmcnt(0)
	; wave barrier
	s_waitcnt lgkmcnt(0)
	global_load_dwordx4 v[56:59], v33, s[4:5] offset:160
	global_load_dwordx4 v[52:55], v33, s[4:5] offset:176
	global_load_dwordx4 v[48:51], v33, s[4:5] offset:192
	global_load_dwordx4 v[44:47], v33, s[4:5] offset:208
	global_load_dwordx4 v[64:67], v33, s[4:5] offset:224
	global_load_dwordx4 v[60:63], v33, s[4:5] offset:240
	v_mul_lo_u16_sdwa v33, v157, s0 dst_sel:DWORD dst_unused:UNUSED_PAD src0_sel:BYTE_0 src1_sel:DWORD
	v_lshrrev_b16_e32 v137, 11, v33
	v_mul_lo_u16_e32 v33, 12, v137
	v_sub_u16_e32 v138, v157, v33
	v_mul_u32_u24_sdwa v33, v138, v32 dst_sel:DWORD dst_unused:UNUSED_PAD src0_sel:BYTE_0 src1_sel:DWORD
	v_lshlrev_b32_e32 v33, 4, v33
	global_load_dwordx4 v[80:83], v33, s[4:5] offset:160
	global_load_dwordx4 v[86:89], v33, s[4:5] offset:176
	;; [unrolled: 1-line block ×6, first 2 shown]
	v_mul_lo_u16_sdwa v33, v116, s0 dst_sel:DWORD dst_unused:UNUSED_PAD src0_sel:BYTE_0 src1_sel:DWORD
	v_lshrrev_b16_e32 v139, 11, v33
	v_mul_lo_u16_e32 v33, 12, v139
	v_sub_u16_e32 v198, v116, v33
	v_mul_u32_u24_sdwa v32, v198, v32 dst_sel:DWORD dst_unused:UNUSED_PAD src0_sel:BYTE_0 src1_sel:DWORD
	v_lshlrev_b32_e32 v32, 4, v32
	global_load_dwordx4 v[144:147], v32, s[4:5] offset:160
	global_load_dwordx4 v[148:151], v32, s[4:5] offset:176
	;; [unrolled: 1-line block ×6, first 2 shown]
	ds_read2_b64 v[32:35], v132 offset1:176
	ds_read_b64 v[98:99], v70
	ds_read_b64 v[106:107], v71
	ds_read2_b64 v[170:173], v134 offset0:100 offset1:144
	ds_read2_b64 v[174:177], v84 offset0:148 offset1:192
	;; [unrolled: 1-line block ×3, first 2 shown]
	ds_read_b64 v[70:71], v133
	ds_read2_b64 v[182:185], v105 offset0:92 offset1:180
	ds_read_b64 v[96:97], v79
	ds_read2_b64 v[186:189], v85 offset0:96 offset1:184
	ds_read2_b64 v[190:193], v84 offset0:60 offset1:104
	;; [unrolled: 1-line block ×3, first 2 shown]
	ds_read_b64 v[68:69], v78
	s_mov_b32 s6, 0x36b3c0b5
	s_mov_b32 s7, 0x3fac98ee
	s_waitcnt lgkmcnt(0)
	; wave barrier
	s_waitcnt lgkmcnt(0)
	v_cmp_gt_u32_e64 s[0:1], 40, v156
	s_waitcnt vmcnt(17)
	v_mul_f64 v[94:95], v[96:97], v[58:59]
	v_mul_f64 v[58:59], v[76:77], v[58:59]
	v_fma_f64 v[100:101], v[96:97], v[56:57], -v[58:59]
	s_waitcnt vmcnt(14)
	v_mul_f64 v[108:109], v[172:173], v[46:47]
	v_fmac_f64_e32 v[108:109], v[22:23], v[44:45]
	v_mul_f64 v[22:23], v[22:23], v[46:47]
	v_fma_f64 v[110:111], v[172:173], v[44:45], -v[22:23]
	s_waitcnt vmcnt(13)
	v_mul_f64 v[116:117], v[174:175], v[66:67]
	v_mul_f64 v[22:23], v[40:41], v[66:67]
	s_waitcnt vmcnt(11)
	v_mul_f64 v[66:67], v[34:35], v[82:83]
	v_mul_f64 v[96:97], v[98:99], v[54:55]
	v_fmac_f64_e32 v[66:67], v[10:11], v[80:81]
	v_mul_f64 v[10:11], v[10:11], v[82:83]
	v_fmac_f64_e32 v[96:97], v[74:75], v[52:53]
	v_mul_f64 v[54:55], v[74:75], v[54:55]
	v_mul_f64 v[102:103], v[106:107], v[50:51]
	v_fma_f64 v[74:75], v[34:35], v[80:81], -v[10:11]
	s_waitcnt vmcnt(10)
	v_mul_f64 v[10:11], v[38:39], v[88:89]
	v_fmac_f64_e32 v[102:103], v[72:73], v[48:49]
	v_mul_f64 v[50:51], v[72:73], v[50:51]
	v_mul_f64 v[72:73], v[184:185], v[88:89]
	v_fma_f64 v[78:79], v[184:185], v[86:87], -v[10:11]
	s_waitcnt vmcnt(9)
	v_mul_f64 v[10:11], v[30:31], v[92:93]
	v_fmac_f64_e32 v[72:73], v[38:39], v[86:87]
	v_fma_f64 v[82:83], v[188:189], v[90:91], -v[10:11]
	s_waitcnt vmcnt(8)
	v_mul_f64 v[86:87], v[190:191], v[126:127]
	v_mul_f64 v[10:11], v[24:25], v[126:127]
	v_fmac_f64_e32 v[94:95], v[76:77], v[56:57]
	v_mul_f64 v[76:77], v[188:189], v[92:93]
	v_fmac_f64_e32 v[86:87], v[24:25], v[124:125]
	v_fma_f64 v[24:25], v[190:191], v[124:125], -v[10:11]
	s_waitcnt vmcnt(7)
	v_mul_f64 v[10:11], v[42:43], v[130:131]
	v_fmac_f64_e32 v[76:77], v[30:31], v[90:91]
	v_fma_f64 v[90:91], v[176:177], v[128:129], -v[10:11]
	s_waitcnt vmcnt(6)
	v_mul_f64 v[10:11], v[16:17], v[142:143]
	v_fma_f64 v[104:105], v[98:99], v[52:53], -v[54:55]
	v_fma_f64 v[98:99], v[194:195], v[140:141], -v[10:11]
	s_waitcnt vmcnt(5)
	v_mul_f64 v[30:31], v[182:183], v[146:147]
	v_mul_f64 v[10:11], v[36:37], v[146:147]
	v_fmac_f64_e32 v[30:31], v[36:37], v[144:145]
	v_fma_f64 v[36:37], v[182:183], v[144:145], -v[10:11]
	s_waitcnt vmcnt(4)
	v_mul_f64 v[10:11], v[28:29], v[150:151]
	v_fma_f64 v[38:39], v[186:187], v[148:149], -v[10:11]
	s_waitcnt vmcnt(3)
	v_mul_f64 v[10:11], v[20:21], v[154:155]
	;; [unrolled: 3-line block ×3, first 2 shown]
	v_fmac_f64_e32 v[116:117], v[40:41], v[64:65]
	v_fma_f64 v[118:119], v[174:175], v[64:65], -v[22:23]
	v_mul_f64 v[120:121], v[180:181], v[62:63]
	v_fma_f64 v[64:65], v[192:193], v[158:159], -v[10:11]
	s_waitcnt vmcnt(1)
	v_mul_f64 v[10:11], v[12:13], v[164:165]
	v_fmac_f64_e32 v[120:121], v[14:15], v[60:61]
	v_mul_f64 v[14:15], v[14:15], v[62:63]
	v_mul_f64 v[88:89], v[176:177], v[130:131]
	;; [unrolled: 1-line block ×3, first 2 shown]
	v_fma_f64 v[126:127], v[178:179], v[162:163], -v[10:11]
	s_waitcnt vmcnt(0)
	v_mul_f64 v[10:11], v[18:19], v[168:169]
	v_fma_f64 v[106:107], v[106:107], v[48:49], -v[50:51]
	v_fma_f64 v[122:123], v[180:181], v[60:61], -v[14:15]
	v_fmac_f64_e32 v[88:89], v[42:43], v[128:129]
	v_mul_f64 v[92:93], v[194:195], v[142:143]
	v_fmac_f64_e32 v[34:35], v[28:29], v[148:149]
	v_mul_f64 v[28:29], v[170:171], v[154:155]
	v_mul_f64 v[128:129], v[196:197], v[168:169]
	v_fma_f64 v[130:131], v[196:197], v[166:167], -v[10:11]
	v_add_f64 v[10:11], v[94:95], v[120:121]
	v_add_f64 v[14:15], v[96:97], v[116:117]
	v_fmac_f64_e32 v[92:93], v[16:17], v[140:141]
	v_fmac_f64_e32 v[28:29], v[20:21], v[152:153]
	v_mul_f64 v[46:47], v[192:193], v[160:161]
	v_mul_f64 v[124:125], v[178:179], v[164:165]
	v_fmac_f64_e32 v[128:129], v[18:19], v[166:167]
	v_add_f64 v[16:17], v[104:105], -v[118:119]
	v_add_f64 v[18:19], v[102:103], v[108:109]
	v_add_f64 v[20:21], v[110:111], -v[106:107]
	v_add_f64 v[22:23], v[14:15], v[10:11]
	v_fmac_f64_e32 v[46:47], v[26:27], v[158:159]
	v_fmac_f64_e32 v[124:125], v[12:13], v[162:163]
	v_add_f64 v[12:13], v[100:101], -v[122:123]
	v_add_f64 v[26:27], v[14:15], -v[10:11]
	;; [unrolled: 1-line block ×4, first 2 shown]
	v_add_f64 v[40:41], v[20:21], v[16:17]
	v_add_f64 v[42:43], v[20:21], -v[16:17]
	v_add_f64 v[18:19], v[18:19], v[22:23]
	v_add_f64 v[20:21], v[12:13], -v[20:21]
	v_add_f64 v[16:17], v[16:17], -v[12:13]
	v_add_f64 v[12:13], v[40:41], v[12:13]
	v_add_f64 v[40:41], v[8:9], v[18:19]
	v_mul_f64 v[8:9], v[10:11], s[8:9]
	v_mul_f64 v[10:11], v[14:15], s[6:7]
	;; [unrolled: 1-line block ×4, first 2 shown]
	v_fma_f64 v[18:19], s[18:19], v[18:19], v[40:41]
	v_fma_f64 v[10:11], v[26:27], s[20:21], -v[10:11]
	v_fma_f64 v[26:27], v[26:27], s[22:23], -v[8:9]
	v_fmac_f64_e32 v[8:9], s[6:7], v[14:15]
	v_fma_f64 v[14:15], v[16:17], s[12:13], -v[22:23]
	v_fmac_f64_e32 v[22:23], s[24:25], v[20:21]
	v_fma_f64 v[16:17], v[20:21], s[28:29], -v[42:43]
	v_add_f64 v[8:9], v[8:9], v[18:19]
	v_fmac_f64_e32 v[22:23], s[26:27], v[12:13]
	v_add_f64 v[10:11], v[10:11], v[18:19]
	v_add_f64 v[18:19], v[26:27], v[18:19]
	v_fmac_f64_e32 v[14:15], s[26:27], v[12:13]
	v_fmac_f64_e32 v[16:17], s[26:27], v[12:13]
	v_add_f64 v[26:27], v[22:23], v[8:9]
	v_add_f64 v[54:55], v[8:9], -v[22:23]
	v_add_f64 v[8:9], v[66:67], v[92:93]
	v_add_f64 v[12:13], v[72:73], v[88:89]
	;; [unrolled: 1-line block ×3, first 2 shown]
	v_add_f64 v[48:49], v[10:11], -v[14:15]
	v_add_f64 v[50:51], v[14:15], v[10:11]
	v_add_f64 v[52:53], v[18:19], -v[16:17]
	v_add_f64 v[10:11], v[74:75], -v[98:99]
	;; [unrolled: 1-line block ×3, first 2 shown]
	v_add_f64 v[16:17], v[76:77], v[86:87]
	v_add_f64 v[18:19], v[24:25], -v[82:83]
	v_add_f64 v[20:21], v[12:13], v[8:9]
	v_add_f64 v[22:23], v[12:13], -v[8:9]
	v_add_f64 v[8:9], v[8:9], -v[16:17]
	;; [unrolled: 1-line block ×3, first 2 shown]
	v_add_f64 v[56:57], v[18:19], v[14:15]
	v_add_f64 v[58:59], v[18:19], -v[14:15]
	v_add_f64 v[14:15], v[14:15], -v[10:11]
	v_add_f64 v[16:17], v[16:17], v[20:21]
	v_add_f64 v[18:19], v[10:11], -v[18:19]
	v_add_f64 v[10:11], v[56:57], v[10:11]
	v_add_f64 v[4:5], v[4:5], v[16:17]
	v_mul_f64 v[8:9], v[8:9], s[8:9]
	v_mul_f64 v[20:21], v[12:13], s[6:7]
	;; [unrolled: 1-line block ×4, first 2 shown]
	v_fma_f64 v[16:17], s[18:19], v[16:17], v[4:5]
	v_fma_f64 v[20:21], v[22:23], s[20:21], -v[20:21]
	v_fma_f64 v[22:23], v[22:23], s[22:23], -v[8:9]
	v_fmac_f64_e32 v[8:9], s[6:7], v[12:13]
	v_fma_f64 v[12:13], v[14:15], s[12:13], -v[56:57]
	v_fma_f64 v[14:15], v[18:19], s[28:29], -v[58:59]
	v_fmac_f64_e32 v[56:57], s[24:25], v[18:19]
	v_add_f64 v[18:19], v[8:9], v[16:17]
	v_add_f64 v[8:9], v[20:21], v[16:17]
	;; [unrolled: 1-line block ×3, first 2 shown]
	v_fmac_f64_e32 v[12:13], s[26:27], v[10:11]
	v_fmac_f64_e32 v[14:15], s[26:27], v[10:11]
	;; [unrolled: 1-line block ×3, first 2 shown]
	v_add_f64 v[60:61], v[14:15], v[16:17]
	v_add_f64 v[62:63], v[8:9], -v[12:13]
	v_add_f64 v[80:81], v[12:13], v[8:9]
	v_add_f64 v[8:9], v[16:17], -v[14:15]
	v_add_f64 v[12:13], v[30:31], v[128:129]
	v_add_f64 v[16:17], v[34:35], v[124:125]
	;; [unrolled: 1-line block ×3, first 2 shown]
	v_add_f64 v[10:11], v[18:19], -v[56:57]
	v_add_f64 v[18:19], v[38:39], -v[126:127]
	v_add_f64 v[20:21], v[28:29], v[46:47]
	v_add_f64 v[22:23], v[64:65], -v[44:45]
	v_add_f64 v[56:57], v[16:17], v[12:13]
	v_add_f64 v[14:15], v[36:37], -v[130:131]
	v_add_f64 v[140:141], v[16:17], -v[12:13]
	;; [unrolled: 1-line block ×4, first 2 shown]
	v_add_f64 v[12:13], v[22:23], v[18:19]
	v_add_f64 v[144:145], v[22:23], -v[18:19]
	v_add_f64 v[20:21], v[20:21], v[56:57]
	v_add_f64 v[22:23], v[14:15], -v[22:23]
	v_add_f64 v[18:19], v[18:19], -v[14:15]
	v_add_f64 v[14:15], v[12:13], v[14:15]
	v_add_f64 v[12:13], v[0:1], v[20:21]
	v_mul_f64 v[0:1], v[142:143], s[8:9]
	v_mul_f64 v[56:57], v[16:17], s[6:7]
	;; [unrolled: 1-line block ×3, first 2 shown]
	v_fma_f64 v[20:21], s[18:19], v[20:21], v[12:13]
	v_fma_f64 v[56:57], v[140:141], s[20:21], -v[56:57]
	v_fma_f64 v[146:147], v[18:19], s[12:13], -v[142:143]
	;; [unrolled: 1-line block ×3, first 2 shown]
	v_fmac_f64_e32 v[0:1], s[6:7], v[16:17]
	v_add_f64 v[56:57], v[56:57], v[20:21]
	v_fmac_f64_e32 v[146:147], s[26:27], v[14:15]
	v_mul_f64 v[144:145], v[18:19], s[12:13]
	v_add_f64 v[0:1], v[0:1], v[20:21]
	v_add_f64 v[140:141], v[140:141], v[20:21]
	v_add_f64 v[18:19], v[56:57], -v[146:147]
	v_add_f64 v[20:21], v[146:147], v[56:57]
	v_mov_b32_e32 v57, 3
	v_mul_u32_u24_e32 v56, 0x2a0, v135
	v_lshlrev_b32_sdwa v135, v57, v136 dst_sel:DWORD dst_unused:UNUSED_PAD src0_sel:DWORD src1_sel:BYTE_0
	v_add3_u32 v135, 0, v56, v135
	ds_write2_b64 v135, v[40:41], v[26:27] offset1:12
	ds_write2_b64 v135, v[42:43], v[48:49] offset0:24 offset1:36
	ds_write2_b64 v135, v[50:51], v[52:53] offset0:48 offset1:60
	ds_write_b64 v135, v[54:55] offset:576
	v_mul_u32_u24_e32 v26, 0x2a0, v137
	v_lshlrev_b32_sdwa v27, v57, v138 dst_sel:DWORD dst_unused:UNUSED_PAD src0_sel:DWORD src1_sel:BYTE_0
	v_fmac_f64_e32 v[142:143], s[24:25], v[22:23]
	v_add3_u32 v136, 0, v26, v27
	v_fma_f64 v[22:23], v[22:23], s[28:29], -v[144:145]
	v_fmac_f64_e32 v[142:143], s[26:27], v[14:15]
	ds_write2_b64 v136, v[4:5], v[58:59] offset1:12
	ds_write2_b64 v136, v[60:61], v[62:63] offset0:24 offset1:36
	ds_write2_b64 v136, v[80:81], v[8:9] offset0:48 offset1:60
	ds_write_b64 v136, v[10:11] offset:576
	v_mul_u32_u24_e32 v4, 0x2a0, v139
	v_lshlrev_b32_sdwa v5, v57, v198 dst_sel:DWORD dst_unused:UNUSED_PAD src0_sel:DWORD src1_sel:BYTE_0
	v_fmac_f64_e32 v[22:23], s[26:27], v[14:15]
	v_add_f64 v[14:15], v[142:143], v[0:1]
	v_add3_u32 v137, 0, v4, v5
	v_add_f64 v[16:17], v[22:23], v[140:141]
	v_add_f64 v[22:23], v[140:141], -v[22:23]
	v_add_f64 v[0:1], v[0:1], -v[142:143]
	ds_write2_b64 v137, v[12:13], v[14:15] offset1:12
	ds_write2_b64 v137, v[16:17], v[18:19] offset0:24 offset1:36
	ds_write2_b64 v137, v[20:21], v[22:23] offset0:48 offset1:60
	ds_write_b64 v137, v[0:1] offset:576
	s_waitcnt lgkmcnt(0)
	; wave barrier
	s_waitcnt lgkmcnt(0)
	ds_read2_b64 v[40:43], v132 offset1:84
	ds_read2_b64 v[48:51], v132 offset0:168 offset1:252
	ds_read2_b64 v[56:59], v85 offset0:80 offset1:164
	;; [unrolled: 1-line block ×4, first 2 shown]
	ds_read_b64 v[84:85], v132 offset:6720
	s_and_saveexec_b64 s[30:31], s[0:1]
	s_cbranch_execz .LBB0_29
; %bb.28:
	v_add_u32_e32 v0, 0x800, v132
	ds_read_b64 v[80:81], v133
	ds_read2_b64 v[8:11], v132 offset0:128 offset1:212
	ds_read2_b64 v[12:15], v0 offset0:40 offset1:124
	;; [unrolled: 1-line block ×3, first 2 shown]
	v_add_u32_e32 v0, 0x1000, v132
	ds_read2_b64 v[20:23], v0 offset0:120 offset1:204
	v_add_u32_e32 v0, 0x1800, v132
	ds_read2_b64 v[0:3], v0 offset0:32 offset1:116
.LBB0_29:
	s_or_b64 exec, exec, s[30:31]
	v_add_f64 v[4:5], v[100:101], v[122:123]
	v_add_f64 v[26:27], v[94:95], -v[120:121]
	v_add_f64 v[94:95], v[104:105], v[118:119]
	v_add_f64 v[96:97], v[96:97], -v[116:117]
	;; [unrolled: 2-line block ×4, first 2 shown]
	v_add_f64 v[4:5], v[4:5], -v[100:101]
	v_add_f64 v[94:95], v[100:101], -v[94:95]
	v_add_f64 v[108:109], v[102:103], v[96:97]
	v_add_f64 v[110:111], v[102:103], -v[96:97]
	v_add_f64 v[96:97], v[96:97], -v[26:27]
	v_add_f64 v[100:101], v[100:101], v[104:105]
	v_add_f64 v[102:103], v[26:27], -v[102:103]
	v_add_f64 v[26:27], v[108:109], v[26:27]
	v_add_f64 v[104:105], v[32:33], v[100:101]
	v_mul_f64 v[4:5], v[4:5], s[8:9]
	v_mul_f64 v[32:33], v[94:95], s[6:7]
	;; [unrolled: 1-line block ×4, first 2 shown]
	v_fma_f64 v[100:101], s[18:19], v[100:101], v[104:105]
	v_fma_f64 v[32:33], v[106:107], s[20:21], -v[32:33]
	v_fma_f64 v[106:107], v[106:107], s[22:23], -v[4:5]
	v_fmac_f64_e32 v[4:5], s[6:7], v[94:95]
	v_fma_f64 v[94:95], v[96:97], s[12:13], -v[108:109]
	v_fmac_f64_e32 v[108:109], s[24:25], v[102:103]
	v_fma_f64 v[96:97], v[102:103], s[28:29], -v[110:111]
	v_add_f64 v[4:5], v[4:5], v[100:101]
	v_add_f64 v[32:33], v[32:33], v[100:101]
	;; [unrolled: 1-line block ×3, first 2 shown]
	v_fmac_f64_e32 v[108:109], s[26:27], v[26:27]
	v_fmac_f64_e32 v[94:95], s[26:27], v[26:27]
	;; [unrolled: 1-line block ×3, first 2 shown]
	v_add_f64 v[102:103], v[4:5], -v[108:109]
	v_add_f64 v[106:107], v[100:101], -v[96:97]
	v_add_f64 v[110:111], v[94:95], v[32:33]
	v_add_f64 v[94:95], v[32:33], -v[94:95]
	v_add_f64 v[96:97], v[96:97], v[100:101]
	v_add_f64 v[100:101], v[108:109], v[4:5]
	;; [unrolled: 1-line block ×4, first 2 shown]
	v_add_f64 v[26:27], v[66:67], -v[92:93]
	v_add_f64 v[66:67], v[72:73], -v[88:89]
	v_add_f64 v[24:25], v[82:83], v[24:25]
	v_add_f64 v[72:73], v[86:87], -v[76:77]
	v_add_f64 v[74:75], v[32:33], v[4:5]
	v_add_f64 v[76:77], v[32:33], -v[4:5]
	v_add_f64 v[4:5], v[4:5], -v[24:25]
	;; [unrolled: 1-line block ×3, first 2 shown]
	v_add_f64 v[78:79], v[72:73], v[66:67]
	v_add_f64 v[82:83], v[72:73], -v[66:67]
	v_add_f64 v[24:25], v[24:25], v[74:75]
	v_add_f64 v[72:73], v[26:27], -v[72:73]
	v_add_f64 v[66:67], v[66:67], -v[26:27]
	v_add_f64 v[26:27], v[78:79], v[26:27]
	v_add_f64 v[70:71], v[70:71], v[24:25]
	v_mul_f64 v[4:5], v[4:5], s[8:9]
	v_mul_f64 v[74:75], v[32:33], s[6:7]
	;; [unrolled: 1-line block ×4, first 2 shown]
	v_fma_f64 v[24:25], s[18:19], v[24:25], v[70:71]
	v_fma_f64 v[74:75], v[76:77], s[20:21], -v[74:75]
	v_fma_f64 v[76:77], v[76:77], s[22:23], -v[4:5]
	v_fmac_f64_e32 v[4:5], s[6:7], v[32:33]
	v_fma_f64 v[32:33], v[66:67], s[12:13], -v[78:79]
	v_fmac_f64_e32 v[78:79], s[24:25], v[72:73]
	v_fma_f64 v[66:67], v[72:73], s[28:29], -v[82:83]
	v_add_f64 v[4:5], v[4:5], v[24:25]
	v_add_f64 v[72:73], v[74:75], v[24:25]
	v_fmac_f64_e32 v[78:79], s[26:27], v[26:27]
	v_fmac_f64_e32 v[32:33], s[26:27], v[26:27]
	;; [unrolled: 1-line block ×3, first 2 shown]
	v_add_f64 v[74:75], v[4:5], -v[78:79]
	v_add_f64 v[86:87], v[32:33], v[72:73]
	v_add_f64 v[82:83], v[72:73], -v[32:33]
	v_add_f64 v[26:27], v[78:79], v[4:5]
	v_add_f64 v[4:5], v[36:37], v[130:131]
	;; [unrolled: 1-line block ×3, first 2 shown]
	v_add_f64 v[30:31], v[30:31], -v[128:129]
	v_add_f64 v[34:35], v[34:35], -v[124:125]
	v_add_f64 v[36:37], v[44:45], v[64:65]
	v_add_f64 v[28:29], v[46:47], -v[28:29]
	v_add_f64 v[38:39], v[32:33], v[4:5]
	v_add_f64 v[24:25], v[76:77], v[24:25]
	v_add_f64 v[44:45], v[32:33], -v[4:5]
	v_add_f64 v[4:5], v[4:5], -v[36:37]
	v_add_f64 v[32:33], v[36:37], -v[32:33]
	v_add_f64 v[46:47], v[28:29], v[34:35]
	v_add_f64 v[64:65], v[28:29], -v[34:35]
	v_add_f64 v[34:35], v[34:35], -v[30:31]
	v_add_f64 v[36:37], v[36:37], v[38:39]
	v_add_f64 v[76:77], v[24:25], -v[66:67]
	v_add_f64 v[24:25], v[66:67], v[24:25]
	;; [unrolled: 2-line block ×3, first 2 shown]
	v_add_f64 v[28:29], v[68:69], v[36:37]
	v_mul_f64 v[4:5], v[4:5], s[8:9]
	v_mul_f64 v[38:39], v[32:33], s[6:7]
	v_mul_f64 v[46:47], v[64:65], s[14:15]
	v_mul_f64 v[64:65], v[34:35], s[12:13]
	v_fma_f64 v[36:37], s[18:19], v[36:37], v[28:29]
	v_fma_f64 v[38:39], v[44:45], s[20:21], -v[38:39]
	v_fma_f64 v[44:45], v[44:45], s[22:23], -v[4:5]
	v_fmac_f64_e32 v[4:5], s[6:7], v[32:33]
	v_fma_f64 v[68:69], v[34:35], s[12:13], -v[46:47]
	v_fmac_f64_e32 v[46:47], s[24:25], v[66:67]
	v_fma_f64 v[64:65], v[66:67], s[28:29], -v[64:65]
	v_add_f64 v[4:5], v[4:5], v[36:37]
	v_add_f64 v[38:39], v[38:39], v[36:37]
	;; [unrolled: 1-line block ×3, first 2 shown]
	v_fmac_f64_e32 v[46:47], s[26:27], v[30:31]
	v_fmac_f64_e32 v[68:69], s[26:27], v[30:31]
	;; [unrolled: 1-line block ×3, first 2 shown]
	v_add_f64 v[30:31], v[4:5], -v[46:47]
	v_add_f64 v[32:33], v[44:45], -v[64:65]
	v_add_f64 v[34:35], v[68:69], v[38:39]
	v_add_f64 v[36:37], v[38:39], -v[68:69]
	v_add_f64 v[38:39], v[64:65], v[44:45]
	v_add_f64 v[4:5], v[46:47], v[4:5]
	s_waitcnt lgkmcnt(0)
	; wave barrier
	s_waitcnt lgkmcnt(0)
	ds_write2_b64 v135, v[104:105], v[102:103] offset1:12
	ds_write2_b64 v135, v[106:107], v[110:111] offset0:24 offset1:36
	ds_write2_b64 v135, v[94:95], v[96:97] offset0:48 offset1:60
	ds_write_b64 v135, v[100:101] offset:576
	ds_write2_b64 v136, v[70:71], v[74:75] offset1:12
	ds_write2_b64 v136, v[76:77], v[86:87] offset0:24 offset1:36
	ds_write2_b64 v136, v[82:83], v[24:25] offset0:48 offset1:60
	ds_write_b64 v136, v[26:27] offset:576
	ds_write2_b64 v137, v[28:29], v[30:31] offset1:12
	ds_write2_b64 v137, v[32:33], v[34:35] offset0:24 offset1:36
	ds_write2_b64 v137, v[36:37], v[38:39] offset0:48 offset1:60
	ds_write_b64 v137, v[4:5] offset:576
	v_add_u32_e32 v87, 0x800, v132
	v_add_u32_e32 v86, 0x1000, v132
	s_waitcnt lgkmcnt(0)
	; wave barrier
	s_waitcnt lgkmcnt(0)
	ds_read2_b64 v[44:47], v132 offset1:84
	ds_read2_b64 v[64:67], v132 offset0:168 offset1:252
	ds_read2_b64 v[72:75], v87 offset0:80 offset1:164
	;; [unrolled: 1-line block ×4, first 2 shown]
	ds_read_b64 v[116:117], v132 offset:6720
	s_and_saveexec_b64 s[6:7], s[0:1]
	s_cbranch_execz .LBB0_31
; %bb.30:
	v_add_u32_e32 v4, 0xc00, v132
	ds_read_b64 v[82:83], v133
	ds_read2_b64 v[24:27], v132 offset0:128 offset1:212
	ds_read2_b64 v[28:31], v87 offset0:40 offset1:124
	;; [unrolled: 1-line block ×4, first 2 shown]
	v_add_u32_e32 v4, 0x1800, v132
	ds_read2_b64 v[4:7], v4 offset0:32 offset1:116
.LBB0_31:
	s_or_b64 exec, exec, s[6:7]
	s_and_saveexec_b64 s[6:7], vcc
	s_cbranch_execz .LBB0_34
; %bb.32:
	v_mul_u32_u24_e32 v86, 10, v156
	v_lshlrev_b32_e32 v86, 4, v86
	global_load_dwordx4 v[108:111], v86, s[4:5] offset:1376
	global_load_dwordx4 v[118:121], v86, s[4:5] offset:1392
	;; [unrolled: 1-line block ×10, first 2 shown]
	v_mul_lo_u32 v88, s3, v114
	v_mul_lo_u32 v89, s2, v115
	v_mad_u64_u32 v[86:87], s[2:3], s2, v114, 0
	s_mov_b32 s24, 0xfd768dbf
	s_mov_b32 s20, 0xf8bb580b
	;; [unrolled: 1-line block ×7, first 2 shown]
	v_add3_u32 v87, v87, v89, v88
	s_mov_b32 s27, 0xbfeeb42a
	s_mov_b32 s8, 0x8eee2c13
	;; [unrolled: 1-line block ×22, first 2 shown]
	s_waitcnt vmcnt(9) lgkmcnt(3)
	v_mul_f64 v[88:89], v[74:75], v[110:111]
	s_waitcnt vmcnt(8) lgkmcnt(2)
	v_mul_f64 v[90:91], v[76:77], v[120:121]
	v_mul_f64 v[114:115], v[60:61], v[120:121]
	s_waitcnt vmcnt(7)
	v_mul_f64 v[94:95], v[72:73], v[124:125]
	s_waitcnt vmcnt(6)
	v_mul_f64 v[92:93], v[78:79], v[128:129]
	v_mul_f64 v[120:121], v[56:57], v[124:125]
	;; [unrolled: 1-line block ×3, first 2 shown]
	s_waitcnt vmcnt(5)
	v_mul_f64 v[100:101], v[66:67], v[132:133]
	s_waitcnt vmcnt(1)
	v_mul_f64 v[106:107], v[46:47], v[148:149]
	s_waitcnt vmcnt(0) lgkmcnt(0)
	v_mul_f64 v[104:105], v[116:117], v[152:153]
	v_fmac_f64_e32 v[106:107], v[42:43], v[146:147]
	v_mul_f64 v[42:43], v[42:43], v[148:149]
	v_mul_f64 v[96:97], v[68:69], v[136:137]
	v_mul_f64 v[128:129], v[50:51], v[132:133]
	v_mul_f64 v[132:133], v[52:53], v[136:137]
	v_mul_f64 v[102:103], v[64:65], v[140:141]
	v_mul_f64 v[98:99], v[70:71], v[144:145]
	v_mul_f64 v[136:137], v[48:49], v[140:141]
	v_mul_f64 v[140:141], v[54:55], v[144:145]
	v_fmac_f64_e32 v[90:91], v[60:61], v[118:119]
	v_fma_f64 v[76:77], v[76:77], v[118:119], -v[114:115]
	v_fmac_f64_e32 v[104:105], v[84:85], v[150:151]
	v_fma_f64 v[118:119], v[46:47], v[146:147], -v[42:43]
	v_mul_f64 v[42:43], v[84:85], v[152:153]
	v_fmac_f64_e32 v[102:103], v[48:49], v[138:139]
	v_fmac_f64_e32 v[98:99], v[54:55], v[142:143]
	v_fma_f64 v[70:71], v[70:71], v[142:143], -v[140:141]
	v_add_f64 v[140:141], v[106:107], -v[104:105]
	v_fma_f64 v[42:43], v[116:117], v[150:151], -v[42:43]
	v_mul_f64 v[110:111], v[58:59], v[110:111]
	v_fmac_f64_e32 v[100:101], v[50:51], v[130:131]
	v_fmac_f64_e32 v[96:97], v[52:53], v[134:135]
	v_fma_f64 v[114:115], v[64:65], v[138:139], -v[136:137]
	v_add_f64 v[138:139], v[102:103], -v[98:99]
	v_mul_f64 v[64:65], v[140:141], s[24:25]
	v_add_f64 v[84:85], v[118:119], v[42:43]
	v_add_f64 v[154:155], v[118:119], -v[42:43]
	v_fmac_f64_e32 v[88:89], v[58:59], v[108:109]
	v_fma_f64 v[74:75], v[74:75], v[108:109], -v[110:111]
	v_fmac_f64_e32 v[94:95], v[56:57], v[122:123]
	v_fmac_f64_e32 v[92:93], v[62:63], v[126:127]
	v_fma_f64 v[108:109], v[72:73], v[122:123], -v[120:121]
	v_fma_f64 v[72:73], v[78:79], v[126:127], -v[124:125]
	v_fma_f64 v[110:111], v[66:67], v[130:131], -v[128:129]
	v_fma_f64 v[78:79], v[68:69], v[134:135], -v[132:133]
	v_add_f64 v[136:137], v[100:101], -v[96:97]
	v_add_f64 v[126:127], v[114:115], v[70:71]
	v_mul_f64 v[56:57], v[138:139], s[20:21]
	v_fma_f64 v[46:47], s[26:27], v[84:85], v[64:65]
	v_add_f64 v[152:153], v[114:115], -v[70:71]
	v_add_f64 v[144:145], v[106:107], v[104:105]
	v_mul_f64 v[162:163], v[154:155], s[24:25]
	v_add_f64 v[134:135], v[94:95], -v[92:93]
	v_add_f64 v[124:125], v[110:111], v[78:79]
	v_mul_f64 v[54:55], v[136:137], s[14:15]
	v_fma_f64 v[62:63], s[22:23], v[126:127], v[56:57]
	v_add_f64 v[46:47], v[44:45], v[46:47]
	v_add_f64 v[150:151], v[110:111], -v[78:79]
	v_add_f64 v[142:143], v[102:103], v[98:99]
	v_mul_f64 v[158:159], v[152:153], s[20:21]
	v_fma_f64 v[164:165], v[144:145], s[26:27], -v[162:163]
	v_add_f64 v[132:133], v[88:89], -v[90:91]
	v_add_f64 v[122:123], v[108:109], v[72:73]
	v_mul_f64 v[52:53], v[134:135], s[8:9]
	v_fma_f64 v[60:61], s[18:19], v[124:125], v[54:55]
	v_add_f64 v[46:47], v[62:63], v[46:47]
	v_add_f64 v[148:149], v[108:109], -v[72:73]
	v_add_f64 v[130:131], v[100:101], v[96:97]
	v_mul_f64 v[66:67], v[150:151], s[14:15]
	v_fma_f64 v[160:161], v[142:143], s[22:23], -v[158:159]
	v_add_f64 v[164:165], v[40:41], v[164:165]
	v_add_f64 v[120:121], v[74:75], v[76:77]
	v_mul_f64 v[50:51], v[132:133], s[2:3]
	v_fma_f64 v[58:59], s[12:13], v[122:123], v[52:53]
	v_add_f64 v[46:47], v[60:61], v[46:47]
	v_add_f64 v[146:147], v[74:75], -v[76:77]
	v_add_f64 v[128:129], v[94:95], v[92:93]
	v_mul_f64 v[60:61], v[148:149], s[8:9]
	v_fma_f64 v[68:69], v[130:131], s[18:19], -v[66:67]
	v_add_f64 v[160:161], v[160:161], v[164:165]
	v_fma_f64 v[48:49], s[6:7], v[120:121], v[50:51]
	v_add_f64 v[46:47], v[58:59], v[46:47]
	v_add_f64 v[116:117], v[88:89], v[90:91]
	v_mul_f64 v[58:59], v[146:147], s[2:3]
	v_fma_f64 v[62:63], v[128:129], s[12:13], -v[60:61]
	v_add_f64 v[68:69], v[68:69], v[160:161]
	v_add_f64 v[48:49], v[48:49], v[46:47]
	v_fma_f64 v[46:47], v[116:117], s[6:7], -v[58:59]
	v_add_f64 v[62:63], v[62:63], v[68:69]
	v_add_f64 v[46:47], v[46:47], v[62:63]
	v_fma_f64 v[62:63], v[84:85], s[26:27], -v[64:65]
	v_fma_f64 v[56:57], v[126:127], s[22:23], -v[56:57]
	v_add_f64 v[62:63], v[44:45], v[62:63]
	v_fma_f64 v[54:55], v[124:125], s[18:19], -v[54:55]
	v_add_f64 v[56:57], v[56:57], v[62:63]
	;; [unrolled: 2-line block ×4, first 2 shown]
	v_fmac_f64_e32 v[162:163], s[26:27], v[144:145]
	v_add_f64 v[52:53], v[50:51], v[52:53]
	v_fmac_f64_e32 v[158:159], s[22:23], v[142:143]
	v_add_f64 v[50:51], v[40:41], v[162:163]
	;; [unrolled: 2-line block ×3, first 2 shown]
	v_mul_f64 v[158:159], v[140:141], s[14:15]
	v_add_f64 v[50:51], v[66:67], v[50:51]
	v_mul_f64 v[66:67], v[138:139], s[28:29]
	v_fma_f64 v[160:161], s[18:19], v[84:85], v[158:159]
	v_mul_f64 v[170:171], v[154:155], s[14:15]
	v_fmac_f64_e32 v[60:61], s[12:13], v[128:129]
	v_mul_f64 v[62:63], v[136:137], s[30:31]
	v_fma_f64 v[68:69], s[6:7], v[126:127], v[66:67]
	v_add_f64 v[160:161], v[44:45], v[160:161]
	v_mul_f64 v[166:167], v[152:153], s[28:29]
	v_fma_f64 v[172:173], v[144:145], s[18:19], -v[170:171]
	v_fmac_f64_e32 v[58:59], s[6:7], v[116:117]
	v_add_f64 v[50:51], v[60:61], v[50:51]
	v_mul_f64 v[60:61], v[134:135], s[24:25]
	v_fma_f64 v[64:65], s[22:23], v[124:125], v[62:63]
	v_add_f64 v[68:69], v[68:69], v[160:161]
	v_mul_f64 v[162:163], v[150:151], s[30:31]
	v_fma_f64 v[168:169], v[142:143], s[6:7], -v[166:167]
	v_add_f64 v[172:173], v[40:41], v[172:173]
	v_add_f64 v[50:51], v[58:59], v[50:51]
	v_mul_f64 v[58:59], v[132:133], s[8:9]
	v_fma_f64 v[56:57], s[26:27], v[122:123], v[60:61]
	v_add_f64 v[64:65], v[64:65], v[68:69]
	v_mul_f64 v[160:161], v[148:149], s[24:25]
	v_fma_f64 v[164:165], v[130:131], s[22:23], -v[162:163]
	v_add_f64 v[168:169], v[168:169], v[172:173]
	v_fma_f64 v[54:55], s[12:13], v[120:121], v[58:59]
	v_add_f64 v[56:57], v[56:57], v[64:65]
	v_mul_f64 v[68:69], v[146:147], s[8:9]
	v_fma_f64 v[64:65], v[128:129], s[26:27], -v[160:161]
	v_add_f64 v[164:165], v[164:165], v[168:169]
	v_add_f64 v[56:57], v[54:55], v[56:57]
	v_fma_f64 v[54:55], v[116:117], s[12:13], -v[68:69]
	v_add_f64 v[64:65], v[64:65], v[164:165]
	v_add_f64 v[54:55], v[54:55], v[64:65]
	v_fma_f64 v[64:65], v[126:127], s[6:7], -v[66:67]
	v_fma_f64 v[66:67], v[84:85], s[18:19], -v[158:159]
	v_add_f64 v[66:67], v[44:45], v[66:67]
	v_fma_f64 v[62:63], v[124:125], s[22:23], -v[62:63]
	v_add_f64 v[64:65], v[64:65], v[66:67]
	;; [unrolled: 2-line block ×4, first 2 shown]
	v_fmac_f64_e32 v[170:171], s[18:19], v[144:145]
	v_add_f64 v[64:65], v[58:59], v[60:61]
	v_fmac_f64_e32 v[166:167], s[6:7], v[142:143]
	v_add_f64 v[58:59], v[40:41], v[170:171]
	;; [unrolled: 2-line block ×3, first 2 shown]
	v_mul_f64 v[166:167], v[140:141], s[2:3]
	v_fmac_f64_e32 v[160:161], s[26:27], v[128:129]
	v_add_f64 v[58:59], v[162:163], v[58:59]
	v_mul_f64 v[162:163], v[138:139], s[34:35]
	v_fma_f64 v[168:169], s[6:7], v[84:85], v[166:167]
	v_mul_f64 v[178:179], v[154:155], s[2:3]
	v_fmac_f64_e32 v[68:69], s[12:13], v[116:117]
	v_add_f64 v[58:59], v[160:161], v[58:59]
	v_mul_f64 v[158:159], v[136:137], s[8:9]
	v_fma_f64 v[164:165], s[26:27], v[126:127], v[162:163]
	v_add_f64 v[168:169], v[44:45], v[168:169]
	v_mul_f64 v[174:175], v[152:153], s[34:35]
	v_fma_f64 v[180:181], v[144:145], s[6:7], -v[178:179]
	v_add_f64 v[62:63], v[68:69], v[58:59]
	v_mul_f64 v[68:69], v[134:135], s[30:31]
	v_fma_f64 v[160:161], s[12:13], v[124:125], v[158:159]
	v_add_f64 v[164:165], v[164:165], v[168:169]
	v_mul_f64 v[170:171], v[150:151], s[8:9]
	v_fma_f64 v[176:177], v[142:143], s[26:27], -v[174:175]
	;; [unrolled: 6-line block ×3, first 2 shown]
	v_add_f64 v[176:177], v[176:177], v[180:181]
	v_fma_f64 v[58:59], s[18:19], v[120:121], v[66:67]
	v_add_f64 v[60:61], v[60:61], v[160:161]
	v_mul_f64 v[164:165], v[146:147], s[14:15]
	v_fma_f64 v[160:161], v[128:129], s[22:23], -v[168:169]
	v_add_f64 v[172:173], v[172:173], v[176:177]
	v_add_f64 v[60:61], v[58:59], v[60:61]
	v_fma_f64 v[58:59], v[116:117], s[18:19], -v[164:165]
	v_add_f64 v[160:161], v[160:161], v[172:173]
	v_add_f64 v[58:59], v[58:59], v[160:161]
	v_fma_f64 v[160:161], v[126:127], s[26:27], -v[162:163]
	v_fma_f64 v[162:163], v[84:85], s[6:7], -v[166:167]
	v_add_f64 v[162:163], v[44:45], v[162:163]
	v_fma_f64 v[158:159], v[124:125], s[12:13], -v[158:159]
	v_add_f64 v[160:161], v[160:161], v[162:163]
	;; [unrolled: 2-line block ×4, first 2 shown]
	v_fmac_f64_e32 v[178:179], s[6:7], v[144:145]
	v_add_f64 v[160:161], v[66:67], v[68:69]
	v_fmac_f64_e32 v[174:175], s[26:27], v[142:143]
	v_add_f64 v[66:67], v[40:41], v[178:179]
	;; [unrolled: 2-line block ×3, first 2 shown]
	v_mul_f64 v[174:175], v[140:141], s[36:37]
	v_fmac_f64_e32 v[168:169], s[22:23], v[128:129]
	v_add_f64 v[66:67], v[170:171], v[66:67]
	v_mul_f64 v[170:171], v[138:139], s[14:15]
	v_fma_f64 v[176:177], s[12:13], v[84:85], v[174:175]
	v_fma_f64 v[174:175], v[84:85], s[12:13], -v[174:175]
	v_fmac_f64_e32 v[164:165], s[18:19], v[116:117]
	v_add_f64 v[66:67], v[168:169], v[66:67]
	v_mul_f64 v[166:167], v[136:137], s[34:35]
	v_fma_f64 v[172:173], s[18:19], v[126:127], v[170:171]
	v_fma_f64 v[170:171], v[126:127], s[18:19], -v[170:171]
	v_add_f64 v[174:175], v[44:45], v[174:175]
	v_add_f64 v[158:159], v[164:165], v[66:67]
	v_mul_f64 v[164:165], v[134:135], s[28:29]
	v_fma_f64 v[168:169], s[26:27], v[124:125], v[166:167]
	v_fma_f64 v[166:167], v[124:125], s[26:27], -v[166:167]
	v_add_f64 v[170:171], v[170:171], v[174:175]
	v_mul_f64 v[162:163], v[132:133], s[20:21]
	v_fma_f64 v[68:69], s[6:7], v[122:123], v[164:165]
	v_mul_f64 v[186:187], v[154:155], s[36:37]
	v_fma_f64 v[164:165], v[122:123], s[6:7], -v[164:165]
	v_add_f64 v[166:167], v[166:167], v[170:171]
	v_fma_f64 v[66:67], s[22:23], v[120:121], v[162:163]
	v_add_f64 v[176:177], v[44:45], v[176:177]
	v_mul_f64 v[182:183], v[152:153], s[14:15]
	v_fma_f64 v[188:189], v[144:145], s[12:13], -v[186:187]
	v_fma_f64 v[162:163], v[120:121], s[22:23], -v[162:163]
	v_add_f64 v[164:165], v[164:165], v[166:167]
	v_fmac_f64_e32 v[186:187], s[12:13], v[144:145]
	v_add_f64 v[172:173], v[172:173], v[176:177]
	v_mul_f64 v[178:179], v[150:151], s[34:35]
	v_fma_f64 v[184:185], v[142:143], s[18:19], -v[182:183]
	v_add_f64 v[164:165], v[162:163], v[164:165]
	v_fmac_f64_e32 v[182:183], s[18:19], v[142:143]
	v_add_f64 v[162:163], v[40:41], v[186:187]
	v_add_f64 v[168:169], v[168:169], v[172:173]
	v_mul_f64 v[172:173], v[148:149], s[28:29]
	v_fma_f64 v[180:181], v[130:131], s[26:27], -v[178:179]
	v_fmac_f64_e32 v[178:179], s[26:27], v[130:131]
	v_add_f64 v[162:163], v[182:183], v[162:163]
	v_mul_f64 v[140:141], v[140:141], s[30:31]
	v_add_f64 v[68:69], v[68:69], v[168:169]
	v_mul_f64 v[168:169], v[146:147], s[20:21]
	v_fma_f64 v[176:177], v[128:129], s[6:7], -v[172:173]
	v_add_f64 v[188:189], v[40:41], v[188:189]
	v_fmac_f64_e32 v[172:173], s[6:7], v[128:129]
	v_add_f64 v[162:163], v[178:179], v[162:163]
	v_mul_f64 v[138:139], v[138:139], s[36:37]
	v_fma_f64 v[174:175], s[22:23], v[84:85], v[140:141]
	v_fma_f64 v[84:85], v[84:85], s[22:23], -v[140:141]
	v_add_f64 v[68:69], v[66:67], v[68:69]
	v_fma_f64 v[66:67], v[116:117], s[22:23], -v[168:169]
	v_add_f64 v[184:185], v[184:185], v[188:189]
	v_fmac_f64_e32 v[168:169], s[22:23], v[116:117]
	v_add_f64 v[162:163], v[172:173], v[162:163]
	v_mul_f64 v[136:137], v[136:137], s[2:3]
	v_fma_f64 v[172:173], s[12:13], v[126:127], v[138:139]
	v_fma_f64 v[126:127], v[126:127], s[12:13], -v[138:139]
	v_add_f64 v[84:85], v[44:45], v[84:85]
	v_add_f64 v[180:181], v[180:181], v[184:185]
	;; [unrolled: 1-line block ×3, first 2 shown]
	v_mul_f64 v[168:169], v[134:135], s[14:15]
	v_fma_f64 v[170:171], s[6:7], v[124:125], v[136:137]
	v_fma_f64 v[124:125], v[124:125], s[6:7], -v[136:137]
	v_add_f64 v[84:85], v[126:127], v[84:85]
	v_add_f64 v[176:177], v[176:177], v[180:181]
	v_mul_f64 v[166:167], v[132:133], s[24:25]
	v_fma_f64 v[134:135], s[18:19], v[122:123], v[168:169]
	v_mul_f64 v[154:155], v[154:155], s[30:31]
	v_fma_f64 v[122:123], v[122:123], s[18:19], -v[168:169]
	v_add_f64 v[84:85], v[124:125], v[84:85]
	v_add_f64 v[66:67], v[66:67], v[176:177]
	v_fma_f64 v[132:133], s[26:27], v[120:121], v[166:167]
	v_fma_f64 v[176:177], v[144:145], s[22:23], -v[154:155]
	v_fma_f64 v[120:121], v[120:121], s[26:27], -v[166:167]
	v_add_f64 v[84:85], v[122:123], v[84:85]
	v_fmac_f64_e32 v[154:155], s[22:23], v[144:145]
	v_add_f64 v[174:175], v[44:45], v[174:175]
	v_add_f64 v[176:177], v[40:41], v[176:177]
	;; [unrolled: 1-line block ×24, first 2 shown]
	v_lshrrev_b32_e32 v40, 2, v156
	v_mul_hi_u32 v40, v40, s33
	v_lshrrev_b32_e32 v40, 2, v40
	s_movk_i32 s33, 0x54
	v_mul_lo_u32 v40, v40, s33
	v_sub_u32_e32 v72, v156, v40
	v_mad_u64_u32 v[70:71], s[38:39], s16, v72, 0
	v_mov_b32_e32 v40, v71
	v_mad_u64_u32 v[40:41], s[38:39], s17, v72, v[40:41]
	v_mov_b32_e32 v71, v40
	v_lshl_add_u64 v[40:41], v[86:87], 4, s[10:11]
	v_lshl_add_u64 v[40:41], v[112:113], 4, v[40:41]
	;; [unrolled: 1-line block ×3, first 2 shown]
	v_mul_f64 v[152:153], v[152:153], s[36:37]
	global_store_dwordx4 v[70:71], v[42:45], off
	v_add_f64 v[172:173], v[172:173], v[174:175]
	v_mul_f64 v[150:151], v[150:151], s[2:3]
	v_add_u32_e32 v45, 0x54, v72
	v_fma_f64 v[174:175], v[142:143], s[12:13], -v[152:153]
	v_fmac_f64_e32 v[152:153], s[12:13], v[142:143]
	v_mad_u64_u32 v[42:43], s[10:11], s16, v45, 0
	v_add_f64 v[170:171], v[170:171], v[172:173]
	v_mul_f64 v[148:149], v[148:149], s[14:15]
	v_fma_f64 v[172:173], v[130:131], s[6:7], -v[150:151]
	v_fmac_f64_e32 v[150:151], s[6:7], v[130:131]
	v_add_f64 v[84:85], v[152:153], v[84:85]
	v_mov_b32_e32 v44, v43
	v_add_f64 v[134:135], v[134:135], v[170:171]
	v_mul_f64 v[146:147], v[146:147], s[24:25]
	v_fma_f64 v[170:171], v[128:129], s[18:19], -v[148:149]
	v_fmac_f64_e32 v[148:149], s[18:19], v[128:129]
	v_add_f64 v[84:85], v[150:151], v[84:85]
	v_mad_u64_u32 v[44:45], s[10:11], s17, v45, v[44:45]
	v_add_f64 v[134:135], v[132:133], v[134:135]
	v_fma_f64 v[132:133], v[116:117], s[26:27], -v[146:147]
	v_fmac_f64_e32 v[146:147], s[26:27], v[116:117]
	v_add_f64 v[84:85], v[148:149], v[84:85]
	v_mov_b32_e32 v43, v44
	v_add_f64 v[120:121], v[146:147], v[84:85]
	v_lshl_add_u64 v[42:43], v[42:43], 4, v[40:41]
	v_add_u32_e32 v45, 0xa8, v72
	global_store_dwordx4 v[42:43], v[120:123], off
	v_mad_u64_u32 v[42:43], s[10:11], s16, v45, 0
	v_mov_b32_e32 v44, v43
	v_mad_u64_u32 v[44:45], s[10:11], s17, v45, v[44:45]
	v_mov_b32_e32 v43, v44
	v_lshl_add_u64 v[42:43], v[42:43], 4, v[40:41]
	v_add_u32_e32 v45, 0xfc, v72
	global_store_dwordx4 v[42:43], v[162:165], off
	v_mad_u64_u32 v[42:43], s[10:11], s16, v45, 0
	v_mov_b32_e32 v44, v43
	v_mad_u64_u32 v[44:45], s[10:11], s17, v45, v[44:45]
	v_mov_b32_e32 v43, v44
	;; [unrolled: 7-line block ×8, first 2 shown]
	v_lshl_add_u64 v[42:43], v[42:43], 4, v[40:41]
	v_add_u32_e32 v45, 0x348, v72
	global_store_dwordx4 v[42:43], v[66:69], off
	v_mad_u64_u32 v[42:43], s[10:11], s16, v45, 0
	v_add_f64 v[174:175], v[174:175], v[176:177]
	v_mov_b32_e32 v44, v43
	v_add_f64 v[172:173], v[172:173], v[174:175]
	v_mad_u64_u32 v[44:45], s[10:11], s17, v45, v[44:45]
	v_add_f64 v[170:171], v[170:171], v[172:173]
	v_mov_b32_e32 v43, v44
	v_add_u32_e32 v52, 44, v156
	v_add_f64 v[132:133], v[132:133], v[170:171]
	v_lshl_add_u64 v[42:43], v[42:43], 4, v[40:41]
	v_cmp_gt_u32_e32 vcc, s33, v52
	global_store_dwordx4 v[42:43], v[132:135], off
	s_and_b64 exec, exec, vcc
	s_cbranch_execz .LBB0_34
; %bb.33:
	v_subrev_u32_e32 v42, 40, v156
	v_cndmask_b32_e64 v42, v42, v157, s[0:1]
	v_mul_i32_i24_e32 v42, 10, v42
	v_mov_b32_e32 v43, 0
	v_lshl_add_u64 v[42:43], v[42:43], 4, s[4:5]
	global_load_dwordx4 v[54:57], v[42:43], off offset:1312
	global_load_dwordx4 v[58:61], v[42:43], off offset:1328
	;; [unrolled: 1-line block ×10, first 2 shown]
	s_mov_b32 s1, 0x3fe82f19
	s_mov_b32 s0, s14
	s_waitcnt vmcnt(9)
	v_mul_f64 v[78:79], v[24:25], v[56:57]
	v_mul_f64 v[56:57], v[8:9], v[56:57]
	s_waitcnt vmcnt(8)
	v_mul_f64 v[100:101], v[26:27], v[60:61]
	v_mul_f64 v[60:61], v[10:11], v[60:61]
	v_fma_f64 v[24:25], v[24:25], v[54:55], -v[56:57]
	s_waitcnt vmcnt(7)
	v_mul_f64 v[50:51], v[28:29], v[64:65]
	v_mul_f64 v[64:65], v[12:13], v[64:65]
	v_fma_f64 v[26:27], v[26:27], v[58:59], -v[60:61]
	s_waitcnt vmcnt(6)
	v_mul_f64 v[46:47], v[30:31], v[68:69]
	s_waitcnt vmcnt(0)
	v_mul_f64 v[106:107], v[6:7], v[98:99]
	v_mul_f64 v[98:99], v[2:3], v[98:99]
	v_fmac_f64_e32 v[106:107], v[2:3], v[96:97]
	v_fma_f64 v[2:3], v[6:7], v[96:97], -v[98:99]
	v_add_f64 v[6:7], v[82:83], v[24:25]
	v_mul_f64 v[68:69], v[14:15], v[68:69]
	v_fmac_f64_e32 v[50:51], v[12:13], v[62:63]
	v_fma_f64 v[12:13], v[28:29], v[62:63], -v[64:65]
	v_add_f64 v[6:7], v[6:7], v[26:27]
	v_mul_f64 v[42:43], v[32:33], v[72:73]
	v_mul_f64 v[72:73], v[16:17], v[72:73]
	v_fmac_f64_e32 v[46:47], v[14:15], v[66:67]
	v_fma_f64 v[14:15], v[30:31], v[66:67], -v[68:69]
	v_add_f64 v[6:7], v[6:7], v[12:13]
	v_mul_f64 v[44:45], v[34:35], v[76:77]
	;; [unrolled: 5-line block ×5, first 2 shown]
	v_mul_f64 v[94:95], v[0:1], v[94:95]
	v_fmac_f64_e32 v[44:45], v[18:19], v[74:75]
	v_fmac_f64_e32 v[102:103], v[22:23], v[88:89]
	v_fma_f64 v[18:19], v[38:39], v[88:89], -v[90:91]
	v_add_f64 v[22:23], v[24:25], v[2:3]
	v_add_f64 v[24:25], v[24:25], -v[2:3]
	v_add_f64 v[6:7], v[6:7], v[16:17]
	v_fmac_f64_e32 v[48:49], v[20:21], v[84:85]
	v_fma_f64 v[4:5], v[4:5], v[92:93], -v[94:95]
	v_add_f64 v[20:21], v[78:79], v[106:107]
	v_add_f64 v[28:29], v[78:79], -v[106:107]
	v_mul_f64 v[34:35], v[24:25], s[36:37]
	v_mul_f64 v[36:37], v[22:23], s[12:13]
	v_add_f64 v[6:7], v[6:7], v[18:19]
	v_mul_f64 v[32:33], v[22:23], s[22:23]
	v_fma_f64 v[56:57], s[12:13], v[20:21], v[34:35]
	v_fma_f64 v[58:59], s[8:9], v[28:29], v[36:37]
	v_fma_f64 v[34:35], v[20:21], s[12:13], -v[34:35]
	v_add_f64 v[6:7], v[6:7], v[4:5]
	v_fmac_f64_e32 v[36:37], s[36:37], v[28:29]
	v_mul_f64 v[62:63], v[22:23], s[6:7]
	v_mul_f64 v[70:71], v[22:23], s[18:19]
	;; [unrolled: 1-line block ×3, first 2 shown]
	v_fmac_f64_e32 v[104:105], v[0:1], v[92:93]
	v_mul_f64 v[30:31], v[24:25], s[30:31]
	v_fma_f64 v[54:55], s[20:21], v[28:29], v[32:33]
	v_fmac_f64_e32 v[32:33], s[30:31], v[28:29]
	v_add_f64 v[2:3], v[6:7], v[2:3]
	v_add_f64 v[6:7], v[80:81], v[34:35]
	;; [unrolled: 1-line block ×3, first 2 shown]
	v_mul_f64 v[36:37], v[24:25], s[2:3]
	v_fma_f64 v[64:65], s[28:29], v[28:29], v[62:63]
	v_fmac_f64_e32 v[62:63], s[2:3], v[28:29]
	v_mul_f64 v[66:67], v[24:25], s[14:15]
	v_fma_f64 v[72:73], s[0:1], v[28:29], v[70:71]
	v_fmac_f64_e32 v[70:71], s[14:15], v[28:29]
	;; [unrolled: 3-line block ×3, first 2 shown]
	v_add_f64 v[28:29], v[26:27], v[4:5]
	v_add_f64 v[4:5], v[26:27], -v[4:5]
	v_fma_f64 v[38:39], s[22:23], v[20:21], v[30:31]
	v_fma_f64 v[30:31], v[20:21], s[22:23], -v[30:31]
	v_fma_f64 v[60:61], s[6:7], v[20:21], v[36:37]
	v_fma_f64 v[36:37], v[20:21], s[6:7], -v[36:37]
	;; [unrolled: 2-line block ×4, first 2 shown]
	v_add_f64 v[24:25], v[100:101], v[104:105]
	v_mul_f64 v[26:27], v[4:5], s[36:37]
	v_add_f64 v[0:1], v[80:81], v[78:79]
	v_add_f64 v[38:39], v[80:81], v[38:39]
	v_add_f64 v[30:31], v[80:81], v[30:31]
	v_add_f64 v[56:57], v[80:81], v[56:57]
	v_add_f64 v[60:61], v[80:81], v[60:61]
	v_add_f64 v[36:37], v[80:81], v[36:37]
	v_add_f64 v[68:69], v[80:81], v[68:69]
	v_add_f64 v[66:67], v[80:81], v[66:67]
	v_add_f64 v[74:75], v[80:81], v[74:75]
	v_add_f64 v[20:21], v[80:81], v[20:21]
	v_fma_f64 v[80:81], s[12:13], v[24:25], v[26:27]
	v_add_f64 v[78:79], v[100:101], -v[104:105]
	v_add_f64 v[38:39], v[80:81], v[38:39]
	v_mul_f64 v[80:81], v[28:29], s[12:13]
	v_add_f64 v[54:55], v[82:83], v[54:55]
	v_add_f64 v[32:33], v[82:83], v[32:33]
	;; [unrolled: 1-line block ×9, first 2 shown]
	v_fma_f64 v[82:83], s[8:9], v[78:79], v[80:81]
	v_fma_f64 v[26:27], v[24:25], s[12:13], -v[26:27]
	v_fmac_f64_e32 v[80:81], s[36:37], v[78:79]
	v_add_f64 v[26:27], v[26:27], v[30:31]
	v_add_f64 v[30:31], v[80:81], v[32:33]
	v_mul_f64 v[32:33], v[4:5], s[14:15]
	v_fma_f64 v[80:81], s[18:19], v[24:25], v[32:33]
	v_add_f64 v[56:57], v[80:81], v[56:57]
	v_mul_f64 v[80:81], v[28:29], s[18:19]
	v_add_f64 v[54:55], v[82:83], v[54:55]
	v_fma_f64 v[82:83], s[0:1], v[78:79], v[80:81]
	v_fma_f64 v[32:33], v[24:25], s[18:19], -v[32:33]
	v_fmac_f64_e32 v[80:81], s[14:15], v[78:79]
	v_add_f64 v[6:7], v[32:33], v[6:7]
	v_add_f64 v[32:33], v[80:81], v[34:35]
	v_mul_f64 v[34:35], v[4:5], s[34:35]
	v_fma_f64 v[80:81], s[26:27], v[24:25], v[34:35]
	v_add_f64 v[60:61], v[80:81], v[60:61]
	v_mul_f64 v[80:81], v[28:29], s[26:27]
	v_add_f64 v[58:59], v[82:83], v[58:59]
	;; [unrolled: 10-line block ×3, first 2 shown]
	v_fma_f64 v[82:83], s[2:3], v[78:79], v[80:81]
	v_fma_f64 v[62:63], v[24:25], s[6:7], -v[62:63]
	v_fmac_f64_e32 v[80:81], s[28:29], v[78:79]
	v_mul_f64 v[4:5], v[4:5], s[20:21]
	v_add_f64 v[62:63], v[62:63], v[66:67]
	v_add_f64 v[66:67], v[80:81], v[70:71]
	v_fma_f64 v[70:71], s[22:23], v[24:25], v[4:5]
	v_mul_f64 v[28:29], v[28:29], s[22:23]
	v_add_f64 v[70:71], v[70:71], v[74:75]
	v_fma_f64 v[74:75], s[30:31], v[78:79], v[28:29]
	v_fma_f64 v[4:5], v[24:25], s[22:23], -v[4:5]
	v_fmac_f64_e32 v[28:29], s[20:21], v[78:79]
	v_add_f64 v[24:25], v[12:13], v[18:19]
	v_add_f64 v[12:13], v[12:13], -v[18:19]
	v_add_f64 v[0:1], v[0:1], v[100:101]
	v_add_f64 v[4:5], v[4:5], v[20:21]
	v_add_f64 v[20:21], v[28:29], v[22:23]
	v_add_f64 v[22:23], v[50:51], v[102:103]
	v_mul_f64 v[18:19], v[12:13], s[2:3]
	v_add_f64 v[0:1], v[0:1], v[50:51]
	v_add_f64 v[28:29], v[50:51], -v[102:103]
	v_fma_f64 v[50:51], s[6:7], v[22:23], v[18:19]
	v_add_f64 v[38:39], v[50:51], v[38:39]
	v_mul_f64 v[50:51], v[24:25], s[6:7]
	v_add_f64 v[74:75], v[74:75], v[76:77]
	v_fma_f64 v[76:77], s[28:29], v[28:29], v[50:51]
	v_fma_f64 v[18:19], v[22:23], s[6:7], -v[18:19]
	v_fmac_f64_e32 v[50:51], s[2:3], v[28:29]
	v_add_f64 v[18:19], v[18:19], v[26:27]
	v_add_f64 v[26:27], v[50:51], v[30:31]
	v_mul_f64 v[30:31], v[12:13], s[34:35]
	v_fma_f64 v[50:51], s[26:27], v[22:23], v[30:31]
	v_add_f64 v[50:51], v[50:51], v[56:57]
	v_mul_f64 v[56:57], v[24:25], s[26:27]
	v_add_f64 v[54:55], v[76:77], v[54:55]
	v_fma_f64 v[76:77], s[24:25], v[28:29], v[56:57]
	v_fma_f64 v[30:31], v[22:23], s[26:27], -v[30:31]
	v_fmac_f64_e32 v[56:57], s[34:35], v[28:29]
	v_add_f64 v[6:7], v[30:31], v[6:7]
	v_add_f64 v[30:31], v[56:57], v[32:33]
	v_mul_f64 v[32:33], v[12:13], s[8:9]
	;; [unrolled: 10-line block ×3, first 2 shown]
	v_fma_f64 v[60:61], s[22:23], v[22:23], v[36:37]
	v_add_f64 v[60:61], v[60:61], v[68:69]
	v_mul_f64 v[68:69], v[24:25], s[22:23]
	v_add_f64 v[64:65], v[76:77], v[64:65]
	v_fma_f64 v[76:77], s[20:21], v[28:29], v[68:69]
	v_fma_f64 v[36:37], v[22:23], s[22:23], -v[36:37]
	v_fmac_f64_e32 v[68:69], s[30:31], v[28:29]
	v_mul_f64 v[12:13], v[12:13], s[14:15]
	v_mul_f64 v[24:25], v[24:25], s[18:19]
	v_add_f64 v[36:37], v[36:37], v[62:63]
	v_add_f64 v[62:63], v[68:69], v[66:67]
	v_fma_f64 v[66:67], s[18:19], v[22:23], v[12:13]
	v_fma_f64 v[68:69], s[0:1], v[28:29], v[24:25]
	v_fma_f64 v[12:13], v[22:23], s[18:19], -v[12:13]
	v_fmac_f64_e32 v[24:25], s[14:15], v[28:29]
	v_add_f64 v[22:23], v[14:15], v[16:17]
	v_add_f64 v[14:15], v[14:15], -v[16:17]
	v_add_f64 v[4:5], v[12:13], v[4:5]
	v_add_f64 v[12:13], v[24:25], v[20:21]
	;; [unrolled: 1-line block ×3, first 2 shown]
	v_mul_f64 v[16:17], v[14:15], s[14:15]
	v_fma_f64 v[28:29], s[18:19], v[20:21], v[16:17]
	v_add_f64 v[0:1], v[0:1], v[46:47]
	v_add_f64 v[24:25], v[46:47], -v[48:49]
	v_add_f64 v[28:29], v[28:29], v[38:39]
	v_mul_f64 v[38:39], v[22:23], s[18:19]
	v_add_f64 v[0:1], v[0:1], v[42:43]
	v_fma_f64 v[46:47], s[0:1], v[24:25], v[38:39]
	v_fma_f64 v[16:17], v[20:21], s[18:19], -v[16:17]
	v_fmac_f64_e32 v[38:39], s[14:15], v[24:25]
	v_add_f64 v[0:1], v[0:1], v[44:45]
	v_add_f64 v[16:17], v[16:17], v[18:19]
	;; [unrolled: 1-line block ×3, first 2 shown]
	v_mul_f64 v[26:27], v[14:15], s[28:29]
	v_add_f64 v[0:1], v[0:1], v[48:49]
	v_fma_f64 v[38:39], s[6:7], v[20:21], v[26:27]
	v_mul_f64 v[48:49], v[22:23], s[6:7]
	v_fma_f64 v[26:27], v[20:21], s[6:7], -v[26:27]
	v_add_f64 v[38:39], v[38:39], v[50:51]
	v_fma_f64 v[50:51], s[2:3], v[24:25], v[48:49]
	v_add_f64 v[26:27], v[26:27], v[6:7]
	v_fmac_f64_e32 v[48:49], s[28:29], v[24:25]
	v_mul_f64 v[6:7], v[14:15], s[30:31]
	v_add_f64 v[46:47], v[46:47], v[54:55]
	v_add_f64 v[30:31], v[48:49], v[30:31]
	v_fma_f64 v[48:49], s[22:23], v[20:21], v[6:7]
	v_mul_f64 v[54:55], v[22:23], s[22:23]
	v_fma_f64 v[6:7], v[20:21], s[22:23], -v[6:7]
	v_add_f64 v[48:49], v[48:49], v[56:57]
	v_fma_f64 v[56:57], s[20:21], v[24:25], v[54:55]
	v_add_f64 v[32:33], v[6:7], v[32:33]
	v_fmac_f64_e32 v[54:55], s[30:31], v[24:25]
	v_mul_f64 v[6:7], v[14:15], s[24:25]
	v_add_f64 v[72:73], v[82:83], v[72:73]
	v_add_f64 v[50:51], v[50:51], v[58:59]
	;; [unrolled: 1-line block ×3, first 2 shown]
	v_fma_f64 v[54:55], s[26:27], v[20:21], v[6:7]
	v_mul_f64 v[58:59], v[22:23], s[26:27]
	v_fma_f64 v[6:7], v[20:21], s[26:27], -v[6:7]
	v_add_f64 v[72:73], v[76:77], v[72:73]
	v_add_f64 v[66:67], v[66:67], v[70:71]
	;; [unrolled: 1-line block ×3, first 2 shown]
	v_fma_f64 v[60:61], s[34:35], v[24:25], v[58:59]
	v_add_f64 v[36:37], v[6:7], v[36:37]
	v_mul_f64 v[6:7], v[14:15], s[8:9]
	v_add_f64 v[70:71], v[42:43], v[44:45]
	v_add_f64 v[44:45], v[42:43], -v[44:45]
	v_add_f64 v[42:43], v[8:9], -v[10:11]
	v_add_f64 v[60:61], v[60:61], v[72:73]
	v_fmac_f64_e32 v[58:59], s[24:25], v[24:25]
	v_fma_f64 v[14:15], s[12:13], v[20:21], v[6:7]
	v_fma_f64 v[6:7], v[20:21], s[12:13], -v[6:7]
	v_add_f64 v[72:73], v[8:9], v[10:11]
	v_mul_f64 v[8:9], v[42:43], s[24:25]
	v_add_f64 v[58:59], v[58:59], v[62:63]
	v_add_f64 v[62:63], v[14:15], v[66:67]
	v_mul_f64 v[14:15], v[22:23], s[12:13]
	v_add_f64 v[66:67], v[6:7], v[4:5]
	v_fma_f64 v[4:5], s[26:27], v[70:71], v[8:9]
	v_fma_f64 v[8:9], v[70:71], s[26:27], -v[8:9]
	v_add_f64 v[68:69], v[68:69], v[74:75]
	v_fma_f64 v[22:23], s[36:37], v[24:25], v[14:15]
	v_fmac_f64_e32 v[14:15], s[8:9], v[24:25]
	v_add_f64 v[8:9], v[8:9], v[16:17]
	v_mul_f64 v[16:17], v[42:43], s[20:21]
	v_add_f64 v[56:57], v[56:57], v[64:65]
	v_add_f64 v[64:65], v[22:23], v[68:69]
	;; [unrolled: 1-line block ×3, first 2 shown]
	v_mul_f64 v[10:11], v[72:73], s[26:27]
	v_fma_f64 v[12:13], s[22:23], v[70:71], v[16:17]
	v_fma_f64 v[16:17], v[70:71], s[22:23], -v[16:17]
	v_fma_f64 v[6:7], s[34:35], v[44:45], v[10:11]
	v_fmac_f64_e32 v[10:11], s[24:25], v[44:45]
	v_add_f64 v[16:17], v[16:17], v[26:27]
	v_mul_f64 v[26:27], v[72:73], s[18:19]
	v_add_f64 v[6:7], v[6:7], v[46:47]
	v_add_f64 v[10:11], v[10:11], v[18:19]
	v_mul_f64 v[18:19], v[72:73], s[22:23]
	v_fma_f64 v[22:23], s[0:1], v[44:45], v[26:27]
	v_fmac_f64_e32 v[26:27], s[14:15], v[44:45]
	v_mul_f64 v[46:47], v[72:73], s[6:7]
	v_add_f64 v[12:13], v[12:13], v[38:39]
	v_fma_f64 v[14:15], s[30:31], v[44:45], v[18:19]
	v_fmac_f64_e32 v[18:19], s[20:21], v[44:45]
	v_mul_f64 v[24:25], v[42:43], s[14:15]
	v_add_f64 v[26:27], v[26:27], v[34:35]
	v_mul_f64 v[34:35], v[72:73], s[12:13]
	v_fma_f64 v[38:39], s[28:29], v[44:45], v[46:47]
	v_fmac_f64_e32 v[46:47], s[2:3], v[44:45]
	v_add_f64 v[18:19], v[18:19], v[30:31]
	v_fma_f64 v[20:21], s[18:19], v[70:71], v[24:25]
	v_fma_f64 v[30:31], s[36:37], v[44:45], v[34:35]
	v_fmac_f64_e32 v[34:35], s[8:9], v[44:45]
	v_add_f64 v[44:45], v[46:47], v[68:69]
	v_mad_u64_u32 v[46:47], s[0:1], s16, v52, 0
	v_add_f64 v[20:21], v[20:21], v[48:49]
	v_mov_b32_e32 v48, v47
	v_add_f64 v[0:1], v[0:1], v[102:103]
	v_mad_u64_u32 v[48:49], s[0:1], s17, v52, v[48:49]
	v_add_f64 v[0:1], v[0:1], v[104:105]
	v_mov_b32_e32 v47, v48
	v_add_f64 v[0:1], v[0:1], v[106:107]
	v_lshl_add_u64 v[46:47], v[46:47], 4, v[40:41]
	global_store_dwordx4 v[46:47], v[0:3], off
	v_add_f64 v[4:5], v[4:5], v[28:29]
	v_add_f64 v[14:15], v[14:15], v[50:51]
	v_add_u32_e32 v3, 0x80, v156
	v_mad_u64_u32 v[0:1], s[0:1], s16, v3, 0
	v_mov_b32_e32 v2, v1
	v_mad_u64_u32 v[2:3], s[0:1], s17, v3, v[2:3]
	v_mov_b32_e32 v1, v2
	v_lshl_add_u64 v[0:1], v[0:1], 4, v[40:41]
	v_add_u32_e32 v3, 0xd4, v156
	global_store_dwordx4 v[0:1], v[4:7], off
	v_mad_u64_u32 v[0:1], s[0:1], s16, v3, 0
	v_mov_b32_e32 v2, v1
	v_mad_u64_u32 v[2:3], s[0:1], s17, v3, v[2:3]
	v_mov_b32_e32 v1, v2
	v_lshl_add_u64 v[0:1], v[0:1], 4, v[40:41]
	v_add_u32_e32 v3, 0x128, v156
	global_store_dwordx4 v[0:1], v[12:15], off
	v_mad_u64_u32 v[0:1], s[0:1], s16, v3, 0
	v_mov_b32_e32 v2, v1
	v_mad_u64_u32 v[2:3], s[0:1], s17, v3, v[2:3]
	v_mov_b32_e32 v1, v2
	v_add_f64 v[22:23], v[22:23], v[56:57]
	v_lshl_add_u64 v[0:1], v[0:1], 4, v[40:41]
	v_add_u32_e32 v3, 0x17c, v156
	global_store_dwordx4 v[0:1], v[20:23], off
	v_mad_u64_u32 v[0:1], s[0:1], s16, v3, 0
	v_fma_f64 v[24:25], v[70:71], s[18:19], -v[24:25]
	v_mov_b32_e32 v2, v1
	v_add_f64 v[24:25], v[24:25], v[32:33]
	v_mul_f64 v[32:33], v[42:43], s[8:9]
	v_mad_u64_u32 v[2:3], s[0:1], s17, v3, v[2:3]
	v_fma_f64 v[28:29], s[12:13], v[70:71], v[32:33]
	v_mov_b32_e32 v1, v2
	v_add_f64 v[28:29], v[28:29], v[54:55]
	v_add_f64 v[30:31], v[30:31], v[60:61]
	v_lshl_add_u64 v[0:1], v[0:1], 4, v[40:41]
	v_add_u32_e32 v3, 0x1d0, v156
	global_store_dwordx4 v[0:1], v[28:31], off
	v_mad_u64_u32 v[0:1], s[0:1], s16, v3, 0
	v_mov_b32_e32 v2, v1
	v_fma_f64 v[32:33], v[70:71], s[12:13], -v[32:33]
	v_mul_f64 v[42:43], v[42:43], s[2:3]
	v_mad_u64_u32 v[2:3], s[0:1], s17, v3, v[2:3]
	v_add_f64 v[32:33], v[32:33], v[36:37]
	v_fma_f64 v[36:37], s[6:7], v[70:71], v[42:43]
	v_mov_b32_e32 v1, v2
	v_add_f64 v[36:37], v[36:37], v[62:63]
	v_add_f64 v[38:39], v[38:39], v[64:65]
	v_lshl_add_u64 v[0:1], v[0:1], 4, v[40:41]
	v_add_u32_e32 v3, 0x224, v156
	global_store_dwordx4 v[0:1], v[36:39], off
	v_mad_u64_u32 v[0:1], s[0:1], s16, v3, 0
	v_mov_b32_e32 v2, v1
	v_mad_u64_u32 v[2:3], s[0:1], s17, v3, v[2:3]
	v_fma_f64 v[42:43], v[70:71], s[6:7], -v[42:43]
	v_mov_b32_e32 v1, v2
	v_add_f64 v[42:43], v[42:43], v[66:67]
	v_lshl_add_u64 v[0:1], v[0:1], 4, v[40:41]
	v_add_u32_e32 v3, 0x278, v156
	global_store_dwordx4 v[0:1], v[42:45], off
	v_mad_u64_u32 v[0:1], s[0:1], s16, v3, 0
	v_mov_b32_e32 v2, v1
	v_mad_u64_u32 v[2:3], s[0:1], s17, v3, v[2:3]
	v_mov_b32_e32 v1, v2
	v_add_f64 v[34:35], v[34:35], v[58:59]
	v_lshl_add_u64 v[0:1], v[0:1], 4, v[40:41]
	v_add_u32_e32 v3, 0x2cc, v156
	global_store_dwordx4 v[0:1], v[32:35], off
	v_mad_u64_u32 v[0:1], s[0:1], s16, v3, 0
	v_mov_b32_e32 v2, v1
	v_mad_u64_u32 v[2:3], s[0:1], s17, v3, v[2:3]
	v_mov_b32_e32 v1, v2
	v_lshl_add_u64 v[0:1], v[0:1], 4, v[40:41]
	v_add_u32_e32 v3, 0x320, v156
	global_store_dwordx4 v[0:1], v[24:27], off
	v_mad_u64_u32 v[0:1], s[0:1], s16, v3, 0
	v_mov_b32_e32 v2, v1
	v_mad_u64_u32 v[2:3], s[0:1], s17, v3, v[2:3]
	v_mov_b32_e32 v1, v2
	v_lshl_add_u64 v[0:1], v[0:1], 4, v[40:41]
	v_add_u32_e32 v3, 0x374, v156
	global_store_dwordx4 v[0:1], v[16:19], off
	v_mad_u64_u32 v[0:1], s[0:1], s16, v3, 0
	v_mov_b32_e32 v2, v1
	v_mad_u64_u32 v[2:3], s[0:1], s17, v3, v[2:3]
	v_mov_b32_e32 v1, v2
	v_lshl_add_u64 v[0:1], v[0:1], 4, v[40:41]
	global_store_dwordx4 v[0:1], v[8:11], off
.LBB0_34:
	s_endpgm
	.section	.rodata,"a",@progbits
	.p2align	6, 0x0
	.amdhsa_kernel fft_rtc_back_len924_factors_2_2_3_7_11_wgs_44_tpt_44_halfLds_dp_op_CI_CI_sbrr_dirReg
		.amdhsa_group_segment_fixed_size 0
		.amdhsa_private_segment_fixed_size 0
		.amdhsa_kernarg_size 104
		.amdhsa_user_sgpr_count 2
		.amdhsa_user_sgpr_dispatch_ptr 0
		.amdhsa_user_sgpr_queue_ptr 0
		.amdhsa_user_sgpr_kernarg_segment_ptr 1
		.amdhsa_user_sgpr_dispatch_id 0
		.amdhsa_user_sgpr_kernarg_preload_length 0
		.amdhsa_user_sgpr_kernarg_preload_offset 0
		.amdhsa_user_sgpr_private_segment_size 0
		.amdhsa_uses_dynamic_stack 0
		.amdhsa_enable_private_segment 0
		.amdhsa_system_sgpr_workgroup_id_x 1
		.amdhsa_system_sgpr_workgroup_id_y 0
		.amdhsa_system_sgpr_workgroup_id_z 0
		.amdhsa_system_sgpr_workgroup_info 0
		.amdhsa_system_vgpr_workitem_id 0
		.amdhsa_next_free_vgpr 199
		.amdhsa_next_free_sgpr 40
		.amdhsa_accum_offset 200
		.amdhsa_reserve_vcc 1
		.amdhsa_float_round_mode_32 0
		.amdhsa_float_round_mode_16_64 0
		.amdhsa_float_denorm_mode_32 3
		.amdhsa_float_denorm_mode_16_64 3
		.amdhsa_dx10_clamp 1
		.amdhsa_ieee_mode 1
		.amdhsa_fp16_overflow 0
		.amdhsa_tg_split 0
		.amdhsa_exception_fp_ieee_invalid_op 0
		.amdhsa_exception_fp_denorm_src 0
		.amdhsa_exception_fp_ieee_div_zero 0
		.amdhsa_exception_fp_ieee_overflow 0
		.amdhsa_exception_fp_ieee_underflow 0
		.amdhsa_exception_fp_ieee_inexact 0
		.amdhsa_exception_int_div_zero 0
	.end_amdhsa_kernel
	.text
.Lfunc_end0:
	.size	fft_rtc_back_len924_factors_2_2_3_7_11_wgs_44_tpt_44_halfLds_dp_op_CI_CI_sbrr_dirReg, .Lfunc_end0-fft_rtc_back_len924_factors_2_2_3_7_11_wgs_44_tpt_44_halfLds_dp_op_CI_CI_sbrr_dirReg
                                        ; -- End function
	.section	.AMDGPU.csdata,"",@progbits
; Kernel info:
; codeLenInByte = 16872
; NumSgprs: 46
; NumVgprs: 199
; NumAgprs: 0
; TotalNumVgprs: 199
; ScratchSize: 0
; MemoryBound: 1
; FloatMode: 240
; IeeeMode: 1
; LDSByteSize: 0 bytes/workgroup (compile time only)
; SGPRBlocks: 5
; VGPRBlocks: 24
; NumSGPRsForWavesPerEU: 46
; NumVGPRsForWavesPerEU: 199
; AccumOffset: 200
; Occupancy: 2
; WaveLimiterHint : 1
; COMPUTE_PGM_RSRC2:SCRATCH_EN: 0
; COMPUTE_PGM_RSRC2:USER_SGPR: 2
; COMPUTE_PGM_RSRC2:TRAP_HANDLER: 0
; COMPUTE_PGM_RSRC2:TGID_X_EN: 1
; COMPUTE_PGM_RSRC2:TGID_Y_EN: 0
; COMPUTE_PGM_RSRC2:TGID_Z_EN: 0
; COMPUTE_PGM_RSRC2:TIDIG_COMP_CNT: 0
; COMPUTE_PGM_RSRC3_GFX90A:ACCUM_OFFSET: 49
; COMPUTE_PGM_RSRC3_GFX90A:TG_SPLIT: 0
	.text
	.p2alignl 6, 3212836864
	.fill 256, 4, 3212836864
	.type	__hip_cuid_5d8aa77b5a2e7ab9,@object ; @__hip_cuid_5d8aa77b5a2e7ab9
	.section	.bss,"aw",@nobits
	.globl	__hip_cuid_5d8aa77b5a2e7ab9
__hip_cuid_5d8aa77b5a2e7ab9:
	.byte	0                               ; 0x0
	.size	__hip_cuid_5d8aa77b5a2e7ab9, 1

	.ident	"AMD clang version 19.0.0git (https://github.com/RadeonOpenCompute/llvm-project roc-6.4.0 25133 c7fe45cf4b819c5991fe208aaa96edf142730f1d)"
	.section	".note.GNU-stack","",@progbits
	.addrsig
	.addrsig_sym __hip_cuid_5d8aa77b5a2e7ab9
	.amdgpu_metadata
---
amdhsa.kernels:
  - .agpr_count:     0
    .args:
      - .actual_access:  read_only
        .address_space:  global
        .offset:         0
        .size:           8
        .value_kind:     global_buffer
      - .offset:         8
        .size:           8
        .value_kind:     by_value
      - .actual_access:  read_only
        .address_space:  global
        .offset:         16
        .size:           8
        .value_kind:     global_buffer
      - .actual_access:  read_only
        .address_space:  global
        .offset:         24
        .size:           8
        .value_kind:     global_buffer
      - .actual_access:  read_only
        .address_space:  global
        .offset:         32
        .size:           8
        .value_kind:     global_buffer
      - .offset:         40
        .size:           8
        .value_kind:     by_value
      - .actual_access:  read_only
        .address_space:  global
        .offset:         48
        .size:           8
        .value_kind:     global_buffer
      - .actual_access:  read_only
        .address_space:  global
        .offset:         56
        .size:           8
        .value_kind:     global_buffer
      - .offset:         64
        .size:           4
        .value_kind:     by_value
      - .actual_access:  read_only
        .address_space:  global
        .offset:         72
        .size:           8
        .value_kind:     global_buffer
      - .actual_access:  read_only
        .address_space:  global
        .offset:         80
        .size:           8
        .value_kind:     global_buffer
      - .actual_access:  read_only
        .address_space:  global
        .offset:         88
        .size:           8
        .value_kind:     global_buffer
      - .actual_access:  write_only
        .address_space:  global
        .offset:         96
        .size:           8
        .value_kind:     global_buffer
    .group_segment_fixed_size: 0
    .kernarg_segment_align: 8
    .kernarg_segment_size: 104
    .language:       OpenCL C
    .language_version:
      - 2
      - 0
    .max_flat_workgroup_size: 44
    .name:           fft_rtc_back_len924_factors_2_2_3_7_11_wgs_44_tpt_44_halfLds_dp_op_CI_CI_sbrr_dirReg
    .private_segment_fixed_size: 0
    .sgpr_count:     46
    .sgpr_spill_count: 0
    .symbol:         fft_rtc_back_len924_factors_2_2_3_7_11_wgs_44_tpt_44_halfLds_dp_op_CI_CI_sbrr_dirReg.kd
    .uniform_work_group_size: 1
    .uses_dynamic_stack: false
    .vgpr_count:     199
    .vgpr_spill_count: 0
    .wavefront_size: 64
amdhsa.target:   amdgcn-amd-amdhsa--gfx950
amdhsa.version:
  - 1
  - 2
...

	.end_amdgpu_metadata
